;; amdgpu-corpus repo=ROCm/rocFFT kind=compiled arch=gfx906 opt=O3
	.text
	.amdgcn_target "amdgcn-amd-amdhsa--gfx906"
	.amdhsa_code_object_version 6
	.protected	bluestein_single_fwd_len784_dim1_sp_op_CI_CI ; -- Begin function bluestein_single_fwd_len784_dim1_sp_op_CI_CI
	.globl	bluestein_single_fwd_len784_dim1_sp_op_CI_CI
	.p2align	8
	.type	bluestein_single_fwd_len784_dim1_sp_op_CI_CI,@function
bluestein_single_fwd_len784_dim1_sp_op_CI_CI: ; @bluestein_single_fwd_len784_dim1_sp_op_CI_CI
; %bb.0:
	s_load_dwordx4 s[16:19], s[4:5], 0x28
	v_mul_u32_u24_e32 v1, 0x493, v0
	v_add_u32_sdwa v64, s6, v1 dst_sel:DWORD dst_unused:UNUSED_PAD src0_sel:DWORD src1_sel:WORD_1
	v_mov_b32_e32 v65, 0
	s_waitcnt lgkmcnt(0)
	v_cmp_gt_u64_e32 vcc, s[16:17], v[64:65]
	s_and_saveexec_b64 s[0:1], vcc
	s_cbranch_execz .LBB0_2
; %bb.1:
	s_load_dwordx4 s[0:3], s[4:5], 0x18
	s_load_dwordx4 s[8:11], s[4:5], 0x0
	v_mov_b32_e32 v2, 56
	v_mul_lo_u16_sdwa v1, v1, v2 dst_sel:DWORD dst_unused:UNUSED_PAD src0_sel:WORD_1 src1_sel:DWORD
	v_sub_u16_e32 v88, v0, v1
	s_waitcnt lgkmcnt(0)
	s_load_dwordx4 s[12:15], s[0:1], 0x0
	v_lshlrev_b32_e32 v85, 3, v88
	v_or_b32_e32 v87, 0x1c0, v88
	v_mov_b32_e32 v86, 0x1c0
	global_load_dwordx2 v[73:74], v85, s[8:9]
	global_load_dwordx2 v[69:70], v85, s[8:9] offset:3136
	s_waitcnt lgkmcnt(0)
	v_mad_u64_u32 v[0:1], s[0:1], s14, v64, 0
	v_mad_u64_u32 v[2:3], s[0:1], s12, v88, 0
	s_mul_hi_u32 s6, s12, 0xfffff580
	s_mul_i32 s14, s13, 0xfffff580
	v_mad_u64_u32 v[4:5], s[0:1], s15, v64, v[1:2]
	s_sub_i32 s15, s6, s12
	s_add_i32 s14, s15, s14
	v_mad_u64_u32 v[5:6], s[0:1], s13, v88, v[3:4]
	v_mov_b32_e32 v1, v4
	v_lshlrev_b64 v[0:1], 3, v[0:1]
	v_mov_b32_e32 v6, s19
	v_mov_b32_e32 v3, v5
	v_add_co_u32_e32 v10, vcc, s18, v0
	v_addc_co_u32_e32 v11, vcc, v6, v1, vcc
	v_lshlrev_b64 v[0:1], 3, v[2:3]
	v_mov_b32_e32 v4, s9
	v_add_co_u32_e32 v0, vcc, v10, v0
	v_addc_co_u32_e32 v1, vcc, v11, v1, vcc
	v_add_co_u32_e32 v92, vcc, s8, v85
	s_mul_i32 s0, s13, 0xc40
	s_mul_hi_u32 s1, s12, 0xc40
	v_addc_co_u32_e32 v93, vcc, 0, v4, vcc
	s_add_i32 s0, s1, s0
	s_mul_i32 s1, s12, 0xc40
	global_load_dwordx2 v[2:3], v[0:1], off
	v_mov_b32_e32 v4, s0
	v_add_co_u32_e32 v0, vcc, s1, v0
	v_addc_co_u32_e32 v1, vcc, v1, v4, vcc
	v_mad_u64_u32 v[4:5], s[6:7], s12, v87, 0
	s_mul_i32 s15, s12, 0xfffff580
	v_mov_b32_e32 v7, s14
	v_mad_u64_u32 v[5:6], s[6:7], s13, v87, v[5:6]
	v_add_co_u32_e32 v6, vcc, s15, v0
	v_addc_co_u32_e32 v7, vcc, v1, v7, vcc
	v_mad_u64_u32 v[8:9], s[6:7], s12, v86, v[6:7]
	v_lshlrev_b64 v[4:5], 3, v[4:5]
	s_mul_i32 s6, s13, 0x1c0
	v_add_co_u32_e32 v4, vcc, v10, v4
	v_addc_co_u32_e32 v5, vcc, v11, v5, vcc
	v_add_u32_e32 v9, s6, v9
	global_load_dwordx2 v[10:11], v[8:9], off
	v_mov_b32_e32 v12, s0
	v_add_co_u32_e32 v8, vcc, s1, v8
	v_addc_co_u32_e32 v9, vcc, v9, v12, vcc
	global_load_dwordx2 v[12:13], v[0:1], off
	global_load_dwordx2 v[14:15], v[6:7], off
	;; [unrolled: 1-line block ×4, first 2 shown]
	global_load_dwordx2 v[71:72], v85, s[8:9] offset:3584
	global_load_dwordx2 v[62:63], v85, s[8:9] offset:4032
	v_mov_b32_e32 v1, s14
	v_add_co_u32_e32 v0, vcc, s15, v8
	v_addc_co_u32_e32 v1, vcc, v9, v1, vcc
	global_load_dwordx2 v[4:5], v[0:1], off
	global_load_dwordx2 v[75:76], v85, s[8:9] offset:448
	global_load_dwordx2 v[67:68], v85, s[8:9] offset:896
	;; [unrolled: 1-line block ×3, first 2 shown]
	v_mov_b32_e32 v6, s0
	v_add_co_u32_e32 v0, vcc, s1, v0
	v_addc_co_u32_e32 v1, vcc, v1, v6, vcc
	s_movk_i32 s6, 0x1000
	v_add_co_u32_e32 v83, vcc, s6, v92
	v_addc_co_u32_e32 v84, vcc, 0, v93, vcc
	global_load_dwordx2 v[6:7], v[0:1], off
	v_mov_b32_e32 v8, s14
	v_add_co_u32_e32 v0, vcc, s15, v0
	v_addc_co_u32_e32 v1, vcc, v1, v8, vcc
	global_load_dwordx2 v[8:9], v[0:1], off
	global_load_dwordx2 v[58:59], v85, s[8:9] offset:1792
	v_mov_b32_e32 v20, s0
	v_add_co_u32_e32 v0, vcc, s1, v0
	v_addc_co_u32_e32 v1, vcc, v1, v20, vcc
	global_load_dwordx2 v[65:66], v[83:84], off offset:384
	global_load_dwordx2 v[20:21], v[0:1], off
	global_load_dwordx2 v[56:57], v[83:84], off offset:832
	v_mov_b32_e32 v22, s14
	v_add_co_u32_e32 v0, vcc, s15, v0
	v_addc_co_u32_e32 v1, vcc, v1, v22, vcc
	global_load_dwordx2 v[22:23], v[0:1], off
	global_load_dwordx2 v[54:55], v85, s[8:9] offset:2240
	v_mov_b32_e32 v24, s0
	v_add_co_u32_e32 v0, vcc, s1, v0
	v_addc_co_u32_e32 v1, vcc, v1, v24, vcc
	global_load_dwordx2 v[24:25], v[0:1], off
	global_load_dwordx2 v[52:53], v[83:84], off offset:1280
	v_mov_b32_e32 v26, s14
	v_add_co_u32_e32 v0, vcc, s15, v0
	v_addc_co_u32_e32 v1, vcc, v1, v26, vcc
	global_load_dwordx2 v[26:27], v[0:1], off
	global_load_dwordx2 v[50:51], v85, s[8:9] offset:2688
	v_mov_b32_e32 v28, s0
	v_add_co_u32_e32 v0, vcc, s1, v0
	v_addc_co_u32_e32 v1, vcc, v1, v28, vcc
	global_load_dwordx2 v[28:29], v[0:1], off
	global_load_dwordx2 v[48:49], v[83:84], off offset:1728
	s_waitcnt vmcnt(25)
	v_mul_f32_e32 v0, v3, v74
	v_mul_f32_e32 v1, v2, v74
	v_fmac_f32_e32 v0, v2, v73
	v_fma_f32 v1, v3, v73, -v1
	v_add_u32_e32 v91, 0x800, v85
	v_add_u32_e32 v89, 0x1000, v85
	;; [unrolled: 1-line block ×3, first 2 shown]
	s_load_dwordx4 s[0:3], s[2:3], 0x0
	v_lshlrev_b32_e32 v110, 4, v88
	s_movk_i32 s6, 0x7c
	s_movk_i32 s7, 0x2fc
	s_mov_b32 s8, 0x3f5ff5aa
	s_load_dwordx2 s[4:5], s[4:5], 0x38
	s_waitcnt vmcnt(23)
	v_mul_f32_e32 v2, v13, v70
	v_mul_f32_e32 v3, v12, v70
	v_fmac_f32_e32 v2, v12, v69
	v_fma_f32 v3, v13, v69, -v3
	ds_write_b64 v85, v[2:3] offset:3136
	s_waitcnt vmcnt(16)
	v_mul_f32_e32 v2, v15, v76
	v_mul_f32_e32 v3, v14, v76
	v_fmac_f32_e32 v2, v14, v75
	v_fma_f32 v3, v15, v75, -v3
	ds_write2_b64 v85, v[0:1], v[2:3] offset1:56
	s_waitcnt vmcnt(15)
	v_mul_f32_e32 v2, v11, v68
	v_mul_f32_e32 v3, v10, v68
	;; [unrolled: 1-line block ×4, first 2 shown]
	v_fmac_f32_e32 v2, v10, v67
	v_fma_f32 v3, v11, v67, -v3
	v_mul_f32_e32 v10, v19, v63
	v_mul_f32_e32 v11, v18, v63
	v_fmac_f32_e32 v0, v16, v71
	v_fma_f32 v1, v17, v71, -v1
	v_fmac_f32_e32 v10, v18, v62
	v_fma_f32 v11, v19, v62, -v11
	ds_write2_b64 v91, v[0:1], v[10:11] offset0:192 offset1:248
	s_waitcnt vmcnt(14)
	v_mul_f32_e32 v0, v5, v61
	v_mul_f32_e32 v1, v4, v61
	v_fmac_f32_e32 v0, v4, v60
	v_fma_f32 v1, v5, v60, -v1
	ds_write2_b64 v85, v[2:3], v[0:1] offset0:112 offset1:168
	s_waitcnt vmcnt(10)
	v_mul_f32_e32 v0, v7, v66
	v_mul_f32_e32 v1, v6, v66
	s_waitcnt vmcnt(8)
	v_mul_f32_e32 v4, v21, v57
	v_mul_f32_e32 v5, v20, v57
	v_fmac_f32_e32 v0, v6, v65
	v_fma_f32 v1, v7, v65, -v1
	v_fmac_f32_e32 v4, v20, v56
	v_fma_f32 v5, v21, v56, -v5
	v_mul_f32_e32 v2, v9, v59
	v_mul_f32_e32 v3, v8, v59
	ds_write2_b64 v89, v[0:1], v[4:5] offset0:48 offset1:104
	s_waitcnt vmcnt(6)
	v_mul_f32_e32 v0, v23, v55
	v_mul_f32_e32 v1, v22, v55
	v_fmac_f32_e32 v2, v8, v58
	v_fma_f32 v3, v9, v58, -v3
	v_fmac_f32_e32 v0, v22, v54
	v_fma_f32 v1, v23, v54, -v1
	ds_write2_b64 v90, v[2:3], v[0:1] offset0:96 offset1:152
	s_waitcnt vmcnt(4)
	v_mul_f32_e32 v1, v25, v53
	v_mul_f32_e32 v0, v24, v53
	s_waitcnt vmcnt(2)
	v_mul_f32_e32 v3, v27, v51
	v_mul_f32_e32 v4, v26, v51
	v_fmac_f32_e32 v3, v26, v50
	v_fma_f32 v4, v27, v50, -v4
	ds_write_b64 v85, v[3:4] offset:2688
	v_fmac_f32_e32 v1, v24, v52
	s_waitcnt vmcnt(0)
	v_mul_f32_e32 v3, v29, v49
	v_mul_f32_e32 v4, v28, v49
	v_fma_f32 v2, v25, v52, -v0
	v_fmac_f32_e32 v3, v28, v48
	v_fma_f32 v4, v29, v48, -v4
	ds_write2_b64 v89, v[1:2], v[3:4] offset0:160 offset1:216
	s_waitcnt lgkmcnt(0)
	; wave barrier
	s_waitcnt lgkmcnt(0)
	ds_read2_b64 v[1:4], v85 offset1:56
	ds_read2_b64 v[5:8], v91 offset0:80 offset1:136
	ds_read2_b64 v[9:12], v91 offset0:192 offset1:248
	;; [unrolled: 1-line block ×6, first 2 shown]
	s_waitcnt lgkmcnt(4)
	v_sub_f32_e32 v9, v3, v9
	v_sub_f32_e32 v10, v4, v10
	;; [unrolled: 1-line block ×4, first 2 shown]
	v_fma_f32 v7, v3, 2.0, -v9
	v_fma_f32 v8, v4, 2.0, -v10
	s_waitcnt lgkmcnt(3)
	v_sub_f32_e32 v3, v13, v11
	v_sub_f32_e32 v4, v14, v12
	v_lshlrev_b32_e32 v0, 1, v88
	v_fma_f32 v29, v1, 2.0, -v31
	v_fma_f32 v30, v2, 2.0, -v32
	;; [unrolled: 1-line block ×4, first 2 shown]
	s_waitcnt lgkmcnt(2)
	v_sub_f32_e32 v13, v15, v17
	v_sub_f32_e32 v14, v16, v18
	s_waitcnt lgkmcnt(1)
	v_sub_f32_e32 v17, v21, v19
	v_sub_f32_e32 v18, v22, v20
	v_fma_f32 v11, v15, 2.0, -v13
	v_fma_f32 v12, v16, 2.0, -v14
	;; [unrolled: 1-line block ×4, first 2 shown]
	s_waitcnt lgkmcnt(0)
	v_sub_f32_e32 v21, v23, v25
	v_sub_f32_e32 v22, v24, v26
	;; [unrolled: 1-line block ×4, first 2 shown]
	s_waitcnt lgkmcnt(0)
	; wave barrier
	ds_write_b128 v110, v[29:32]
	ds_write_b128 v110, v[7:10] offset:896
	v_lshlrev_b32_e32 v94, 3, v0
	v_and_b32_e32 v31, 1, v88
	v_fma_f32 v19, v23, 2.0, -v21
	v_fma_f32 v20, v24, 2.0, -v22
	;; [unrolled: 1-line block ×4, first 2 shown]
	ds_write_b128 v94, v[1:4] offset:1792
	ds_write_b128 v94, v[11:14] offset:2688
	;; [unrolled: 1-line block ×5, first 2 shown]
	v_lshlrev_b32_e32 v1, 3, v31
	s_waitcnt lgkmcnt(0)
	; wave barrier
	s_waitcnt lgkmcnt(0)
	global_load_dwordx2 v[81:82], v1, s[10:11]
	ds_read2_b64 v[1:4], v85 offset1:56
	ds_read2_b64 v[5:8], v91 offset0:80 offset1:136
	ds_read2_b64 v[9:12], v91 offset0:192 offset1:248
	;; [unrolled: 1-line block ×5, first 2 shown]
	s_waitcnt vmcnt(0) lgkmcnt(4)
	v_mul_f32_e32 v25, v8, v82
	v_fma_f32 v25, v7, v81, -v25
	v_mul_f32_e32 v26, v7, v82
	s_waitcnt lgkmcnt(3)
	v_mul_f32_e32 v7, v10, v82
	v_fma_f32 v27, v9, v81, -v7
	v_mul_f32_e32 v7, v12, v82
	v_fma_f32 v29, v11, v81, -v7
	s_waitcnt lgkmcnt(1)
	v_mul_f32_e32 v7, v18, v82
	v_fma_f32 v32, v17, v81, -v7
	v_mul_f32_e32 v7, v20, v82
	v_mul_f32_e32 v28, v9, v82
	v_fma_f32 v34, v19, v81, -v7
	s_waitcnt lgkmcnt(0)
	v_mul_f32_e32 v7, v22, v82
	v_fmac_f32_e32 v26, v8, v81
	v_fmac_f32_e32 v28, v10, v81
	v_mul_f32_e32 v30, v11, v82
	v_fma_f32 v36, v21, v81, -v7
	v_mul_f32_e32 v7, v24, v82
	v_fmac_f32_e32 v30, v12, v81
	v_mul_f32_e32 v33, v17, v82
	v_fma_f32 v38, v23, v81, -v7
	v_sub_f32_e32 v7, v1, v25
	v_sub_f32_e32 v8, v2, v26
	;; [unrolled: 1-line block ×4, first 2 shown]
	v_fmac_f32_e32 v33, v18, v81
	v_fma_f32 v9, v1, 2.0, -v7
	v_fma_f32 v10, v2, 2.0, -v8
	;; [unrolled: 1-line block ×4, first 2 shown]
	ds_read2_b64 v[1:4], v90 offset0:96 offset1:152
	v_mul_f32_e32 v23, v23, v82
	v_mul_f32_e32 v35, v19, v82
	v_fmac_f32_e32 v23, v24, v81
	v_add_u32_e32 v24, 56, v88
	s_waitcnt lgkmcnt(0)
	v_sub_f32_e32 v25, v1, v34
	v_and_or_b32 v34, v0, s6, v31
	v_fmac_f32_e32 v35, v20, v81
	v_sub_f32_e32 v20, v14, v30
	v_sub_f32_e32 v30, v6, v23
	v_lshlrev_b32_e32 v23, 1, v24
	v_lshlrev_b32_e32 v99, 3, v34
	s_movk_i32 s6, 0xfc
	v_mul_f32_e32 v37, v21, v82
	v_sub_f32_e32 v21, v15, v32
	v_add_u32_e32 v32, 0xe0, v0
	s_waitcnt lgkmcnt(0)
	; wave barrier
	ds_write2_b64 v99, v[9:10], v[7:8] offset1:2
	v_and_or_b32 v7, v23, s6, v31
	s_movk_i32 s6, 0x1fc
	v_fmac_f32_e32 v37, v22, v81
	v_sub_f32_e32 v22, v16, v33
	v_add_u32_e32 v33, 0x150, v0
	v_lshlrev_b32_e32 v102, 3, v7
	v_and_or_b32 v7, v32, s6, v31
	v_add_u32_e32 v34, 0x1c0, v0
	v_lshlrev_b32_e32 v101, 3, v7
	v_and_or_b32 v7, v33, s6, v31
	s_movk_i32 s6, 0x3fc
	v_sub_f32_e32 v19, v13, v29
	v_sub_f32_e32 v26, v2, v35
	v_lshlrev_b32_e32 v98, 3, v7
	v_and_or_b32 v7, v34, s6, v31
	v_fma_f32 v13, v13, 2.0, -v19
	v_fma_f32 v14, v14, 2.0, -v20
	;; [unrolled: 1-line block ×6, first 2 shown]
	v_add_u32_e32 v35, 0x230, v0
	v_lshlrev_b32_e32 v97, 3, v7
	v_sub_f32_e32 v27, v3, v36
	v_add_u32_e32 v36, 0x2a0, v0
	ds_write2_b64 v102, v[17:18], v[11:12] offset1:2
	ds_write2_b64 v101, v[13:14], v[19:20] offset1:2
	;; [unrolled: 1-line block ×4, first 2 shown]
	v_and_or_b32 v1, v35, s7, v31
	v_sub_f32_e32 v28, v4, v37
	v_sub_f32_e32 v29, v5, v38
	v_lshlrev_b32_e32 v96, 3, v1
	v_and_or_b32 v1, v36, s6, v31
	v_and_b32_e32 v31, 3, v88
	v_fma_f32 v3, v3, 2.0, -v27
	v_fma_f32 v4, v4, 2.0, -v28
	;; [unrolled: 1-line block ×4, first 2 shown]
	v_lshlrev_b32_e32 v95, 3, v1
	v_lshlrev_b32_e32 v1, 3, v31
	ds_write2_b64 v96, v[3:4], v[27:28] offset1:2
	ds_write2_b64 v95, v[5:6], v[29:30] offset1:2
	s_waitcnt lgkmcnt(0)
	; wave barrier
	s_waitcnt lgkmcnt(0)
	global_load_dwordx2 v[77:78], v1, s[10:11] offset:16
	ds_read2_b64 v[1:4], v91 offset0:192 offset1:248
	ds_read2_b64 v[5:8], v89 offset0:48 offset1:104
	;; [unrolled: 1-line block ×3, first 2 shown]
	s_movk_i32 s6, 0x78
	v_and_or_b32 v37, v0, s6, v31
	v_lshlrev_b32_e32 v109, 3, v37
	s_movk_i32 s6, 0xf8
	s_movk_i32 s7, 0x2f8
	s_waitcnt vmcnt(0) lgkmcnt(2)
	v_mul_f32_e32 v13, v2, v78
	v_fma_f32 v15, v1, v77, -v13
	v_mul_f32_e32 v16, v1, v78
	v_mul_f32_e32 v1, v4, v78
	v_fma_f32 v19, v3, v77, -v1
	s_waitcnt lgkmcnt(1)
	v_mul_f32_e32 v1, v6, v78
	v_fma_f32 v21, v5, v77, -v1
	v_mul_f32_e32 v1, v8, v78
	v_mul_f32_e32 v20, v3, v78
	v_fma_f32 v25, v7, v77, -v1
	s_waitcnt lgkmcnt(0)
	v_mul_f32_e32 v1, v10, v78
	v_fmac_f32_e32 v16, v2, v77
	v_fmac_f32_e32 v20, v4, v77
	v_fma_f32 v27, v9, v77, -v1
	ds_read2_b64 v[1:4], v91 offset0:80 offset1:136
	v_mul_f32_e32 v22, v5, v78
	v_mul_f32_e32 v26, v7, v78
	;; [unrolled: 1-line block ×3, first 2 shown]
	v_fmac_f32_e32 v22, v6, v77
	v_fmac_f32_e32 v26, v8, v77
	v_fma_f32 v29, v11, v77, -v5
	ds_read2_b64 v[5:8], v85 offset1:56
	v_mul_f32_e32 v28, v9, v78
	s_waitcnt lgkmcnt(1)
	v_mul_f32_e32 v9, v4, v78
	v_fma_f32 v9, v3, v77, -v9
	v_mul_f32_e32 v3, v3, v78
	v_fmac_f32_e32 v3, v4, v77
	v_mul_f32_e32 v30, v11, v78
	s_waitcnt lgkmcnt(0)
	v_sub_f32_e32 v13, v5, v9
	v_sub_f32_e32 v14, v6, v3
	v_fmac_f32_e32 v28, v10, v77
	v_fmac_f32_e32 v30, v12, v77
	ds_read2_b64 v[9:12], v85 offset0:112 offset1:168
	v_fma_f32 v17, v5, 2.0, -v13
	v_fma_f32 v18, v6, 2.0, -v14
	ds_read2_b64 v[3:6], v90 offset0:96 offset1:152
	v_sub_f32_e32 v15, v7, v15
	v_sub_f32_e32 v16, v8, v16
	s_waitcnt lgkmcnt(0)
	; wave barrier
	s_waitcnt lgkmcnt(0)
	ds_write2_b64 v109, v[17:18], v[13:14] offset1:4
	v_and_or_b32 v13, v23, s6, v31
	v_fma_f32 v7, v7, 2.0, -v15
	v_fma_f32 v8, v8, 2.0, -v16
	v_lshlrev_b32_e32 v108, 3, v13
	s_movk_i32 s6, 0x1f8
	ds_write2_b64 v108, v[7:8], v[15:16] offset1:4
	v_and_or_b32 v7, v32, s6, v31
	v_lshlrev_b32_e32 v107, 3, v7
	v_and_or_b32 v7, v33, s6, v31
	s_movk_i32 s6, 0x3f8
	v_sub_f32_e32 v19, v9, v19
	v_sub_f32_e32 v20, v10, v20
	;; [unrolled: 1-line block ×6, first 2 shown]
	v_lshlrev_b32_e32 v105, 3, v7
	v_and_or_b32 v7, v34, s6, v31
	v_fma_f32 v9, v9, 2.0, -v19
	v_fma_f32 v10, v10, 2.0, -v20
	;; [unrolled: 1-line block ×6, first 2 shown]
	v_lshlrev_b32_e32 v104, 3, v7
	ds_write2_b64 v107, v[9:10], v[19:20] offset1:4
	ds_write2_b64 v105, v[11:12], v[21:22] offset1:4
	;; [unrolled: 1-line block ×3, first 2 shown]
	v_and_or_b32 v3, v35, s7, v31
	v_sub_f32_e32 v27, v5, v27
	v_sub_f32_e32 v28, v6, v28
	;; [unrolled: 1-line block ×4, first 2 shown]
	v_lshlrev_b32_e32 v103, 3, v3
	v_and_or_b32 v3, v36, s6, v31
	v_fma_f32 v5, v5, 2.0, -v27
	v_fma_f32 v6, v6, 2.0, -v28
	;; [unrolled: 1-line block ×4, first 2 shown]
	v_lshlrev_b32_e32 v100, 3, v3
	v_and_b32_e32 v31, 7, v88
	ds_write2_b64 v103, v[5:6], v[27:28] offset1:4
	ds_write2_b64 v100, v[1:2], v[29:30] offset1:4
	v_lshlrev_b32_e32 v1, 3, v31
	s_waitcnt lgkmcnt(0)
	; wave barrier
	s_waitcnt lgkmcnt(0)
	global_load_dwordx2 v[79:80], v1, s[10:11] offset:48
	ds_read2_b64 v[1:4], v91 offset0:192 offset1:248
	s_movk_i32 s6, 0x70
	v_and_or_b32 v0, v0, s6, v31
	s_movk_i32 s6, 0xf0
	v_lshlrev_b32_e32 v117, 3, v0
	v_and_or_b32 v0, v23, s6, v31
	s_movk_i32 s6, 0x1f0
	v_lshlrev_b32_e32 v116, 3, v0
	v_and_or_b32 v0, v32, s6, v31
	v_lshlrev_b32_e32 v115, 3, v0
	v_and_or_b32 v0, v33, s6, v31
	s_movk_i32 s6, 0x3f0
	v_lshlrev_b32_e32 v114, 3, v0
	v_and_or_b32 v0, v34, s6, v31
	s_movk_i32 s7, 0x2f0
	v_lshlrev_b32_e32 v113, 3, v0
	v_and_or_b32 v0, v35, s7, v31
	v_and_b32_e32 v33, 15, v88
	v_lshlrev_b32_e32 v112, 3, v0
	v_and_or_b32 v0, v36, s6, v31
	v_lshlrev_b32_e32 v111, 3, v0
	v_and_b32_e32 v34, 15, v24
	v_lshrrev_b32_e32 v24, 4, v24
	v_mul_u32_u24_e32 v24, 0x70, v24
	s_waitcnt vmcnt(0) lgkmcnt(0)
	v_mul_f32_e32 v5, v2, v80
	v_fma_f32 v9, v1, v79, -v5
	ds_read2_b64 v[5:8], v89 offset0:48 offset1:104
	v_mul_f32_e32 v10, v1, v80
	v_mul_f32_e32 v1, v4, v80
	v_fma_f32 v19, v3, v79, -v1
	v_mul_f32_e32 v20, v3, v80
	s_waitcnt lgkmcnt(0)
	v_mul_f32_e32 v1, v6, v80
	v_fmac_f32_e32 v10, v2, v79
	v_fmac_f32_e32 v20, v4, v79
	v_fma_f32 v21, v5, v79, -v1
	ds_read2_b64 v[1:4], v89 offset0:160 offset1:216
	v_mul_f32_e32 v22, v5, v80
	v_mul_f32_e32 v5, v8, v80
	v_fma_f32 v25, v7, v79, -v5
	v_mul_f32_e32 v26, v7, v80
	s_waitcnt lgkmcnt(0)
	v_mul_f32_e32 v5, v2, v80
	v_fmac_f32_e32 v22, v6, v79
	v_fmac_f32_e32 v26, v8, v79
	v_fma_f32 v27, v1, v79, -v5
	ds_read2_b64 v[5:8], v91 offset0:80 offset1:136
	v_mul_f32_e32 v28, v1, v80
	v_mul_f32_e32 v1, v4, v80
	;; [unrolled: 1-line block ×3, first 2 shown]
	v_fmac_f32_e32 v28, v2, v79
	v_fma_f32 v29, v3, v79, -v1
	v_fmac_f32_e32 v30, v4, v79
	ds_read2_b64 v[1:4], v85 offset1:56
	s_waitcnt lgkmcnt(1)
	v_mul_f32_e32 v11, v8, v80
	v_fma_f32 v11, v7, v79, -v11
	v_mul_f32_e32 v7, v7, v80
	v_fmac_f32_e32 v7, v8, v79
	s_waitcnt lgkmcnt(0)
	v_sub_f32_e32 v11, v1, v11
	v_sub_f32_e32 v12, v2, v7
	;; [unrolled: 1-line block ×4, first 2 shown]
	ds_read2_b64 v[7:10], v85 offset0:112 offset1:168
	v_fma_f32 v15, v1, 2.0, -v11
	v_fma_f32 v16, v2, 2.0, -v12
	;; [unrolled: 1-line block ×4, first 2 shown]
	ds_read2_b64 v[1:4], v90 offset0:96 offset1:152
	s_waitcnt lgkmcnt(1)
	v_sub_f32_e32 v19, v7, v19
	v_sub_f32_e32 v20, v8, v20
	;; [unrolled: 1-line block ×4, first 2 shown]
	s_waitcnt lgkmcnt(0)
	v_sub_f32_e32 v25, v1, v25
	v_sub_f32_e32 v26, v2, v26
	v_fma_f32 v7, v7, 2.0, -v19
	v_fma_f32 v8, v8, 2.0, -v20
	;; [unrolled: 1-line block ×6, first 2 shown]
	s_waitcnt lgkmcnt(0)
	; wave barrier
	ds_write2_b64 v117, v[15:16], v[11:12] offset1:8
	ds_write2_b64 v116, v[17:18], v[13:14] offset1:8
	;; [unrolled: 1-line block ×5, first 2 shown]
	v_mad_u64_u32 v[25:26], s[6:7], v33, 48, s[10:11]
	v_sub_f32_e32 v27, v3, v27
	v_sub_f32_e32 v28, v4, v28
	;; [unrolled: 1-line block ×4, first 2 shown]
	v_fma_f32 v3, v3, 2.0, -v27
	v_fma_f32 v4, v4, 2.0, -v28
	;; [unrolled: 1-line block ×4, first 2 shown]
	ds_write2_b64 v112, v[3:4], v[27:28] offset1:8
	ds_write2_b64 v111, v[5:6], v[29:30] offset1:8
	s_waitcnt lgkmcnt(0)
	; wave barrier
	s_waitcnt lgkmcnt(0)
	global_load_dwordx4 v[16:19], v[25:26], off offset:112
	v_mad_u64_u32 v[27:28], s[6:7], v34, 48, s[10:11]
	global_load_dwordx4 v[8:11], v[27:28], off offset:112
	global_load_dwordx4 v[12:15], v[25:26], off offset:128
	;; [unrolled: 1-line block ×5, first 2 shown]
	ds_read2_b64 v[25:28], v85 offset0:112 offset1:168
	s_mov_b32 s6, 0xbf3bfb3b
	s_mov_b32 s7, 0x3f3bfb3b
	v_or_b32_e32 v34, v24, v34
	s_waitcnt vmcnt(5) lgkmcnt(0)
	v_mul_f32_e32 v29, v26, v17
	v_fma_f32 v35, v25, v16, -v29
	ds_read2_b64 v[29:32], v90 offset0:96 offset1:152
	v_mul_f32_e32 v36, v25, v17
	s_waitcnt vmcnt(4)
	v_mul_f32_e32 v25, v28, v9
	v_fma_f32 v37, v27, v8, -v25
	v_mul_f32_e32 v38, v27, v9
	s_waitcnt lgkmcnt(0)
	v_mul_f32_e32 v25, v30, v19
	v_fmac_f32_e32 v36, v26, v16
	v_fmac_f32_e32 v38, v28, v8
	v_fma_f32 v39, v29, v18, -v25
	ds_read2_b64 v[25:28], v91 offset0:80 offset1:136
	v_mul_f32_e32 v40, v29, v19
	v_mul_f32_e32 v29, v32, v11
	v_fma_f32 v41, v31, v10, -v29
	v_mul_f32_e32 v42, v31, v11
	s_waitcnt vmcnt(3) lgkmcnt(0)
	v_mul_f32_e32 v29, v26, v13
	v_fmac_f32_e32 v40, v30, v18
	v_fmac_f32_e32 v42, v32, v10
	v_fma_f32 v43, v25, v12, -v29
	ds_read2_b64 v[29:32], v91 offset0:192 offset1:248
	v_mul_f32_e32 v44, v25, v13
	s_waitcnt vmcnt(2)
	v_mul_f32_e32 v25, v28, v1
	v_fma_f32 v45, v27, v0, -v25
	v_mul_f32_e32 v46, v27, v1
	s_waitcnt lgkmcnt(0)
	v_mul_f32_e32 v25, v30, v15
	v_fmac_f32_e32 v44, v26, v12
	v_fmac_f32_e32 v46, v28, v0
	v_fma_f32 v47, v29, v14, -v25
	ds_read2_b64 v[25:28], v89 offset0:48 offset1:104
	v_mul_f32_e32 v106, v29, v15
	v_mul_f32_e32 v29, v32, v3
	v_fma_f32 v118, v31, v2, -v29
	v_mul_f32_e32 v119, v31, v3
	s_waitcnt vmcnt(1) lgkmcnt(0)
	v_mul_f32_e32 v29, v26, v5
	v_fmac_f32_e32 v106, v30, v14
	v_fmac_f32_e32 v119, v32, v2
	v_fma_f32 v120, v25, v4, -v29
	ds_read2_b64 v[29:32], v89 offset0:160 offset1:216
	v_mul_f32_e32 v121, v25, v5
	s_waitcnt vmcnt(0)
	v_mul_f32_e32 v25, v28, v21
	v_fma_f32 v122, v27, v20, -v25
	v_mul_f32_e32 v123, v27, v21
	s_waitcnt lgkmcnt(0)
	v_mul_f32_e32 v25, v30, v7
	v_fma_f32 v124, v29, v6, -v25
	v_mul_f32_e32 v25, v32, v23
	v_mul_f32_e32 v29, v29, v7
	v_fma_f32 v125, v31, v22, -v25
	v_mul_f32_e32 v31, v31, v23
	v_fmac_f32_e32 v29, v30, v6
	v_fmac_f32_e32 v31, v32, v22
	v_add_f32_e32 v30, v35, v124
	v_add_f32_e32 v32, v39, v120
	;; [unrolled: 1-line block ×4, first 2 shown]
	v_fmac_f32_e32 v121, v26, v4
	v_fmac_f32_e32 v123, v28, v20
	v_add_f32_e32 v127, v126, v25
	ds_read2_b64 v[25:28], v85 offset1:56
	v_add_f32_e32 v128, v36, v29
	v_add_f32_e32 v129, v40, v121
	v_sub_f32_e32 v29, v36, v29
	v_sub_f32_e32 v36, v39, v120
	;; [unrolled: 1-line block ×6, first 2 shown]
	v_add_f32_e32 v121, v40, v36
	v_add_f32_e32 v130, v44, v106
	;; [unrolled: 1-line block ×3, first 2 shown]
	v_sub_f32_e32 v124, v40, v36
	v_sub_f32_e32 v40, v35, v40
	;; [unrolled: 1-line block ×3, first 2 shown]
	v_add_f32_e32 v35, v121, v35
	v_add_f32_e32 v121, v43, v39
	;; [unrolled: 1-line block ×3, first 2 shown]
	s_waitcnt lgkmcnt(0)
	v_add_f32_e32 v25, v25, v127
	v_sub_f32_e32 v44, v32, v30
	v_sub_f32_e32 v30, v30, v126
	;; [unrolled: 1-line block ×6, first 2 shown]
	v_add_f32_e32 v121, v121, v29
	v_lshrrev_b32_e32 v29, 4, v88
	v_add_f32_e32 v26, v26, v131
	v_sub_f32_e32 v47, v129, v128
	v_sub_f32_e32 v106, v128, v130
	v_mov_b32_e32 v128, v25
	v_mul_u32_u24_e32 v29, 0x70, v29
	v_sub_f32_e32 v120, v130, v129
	v_fmac_f32_e32 v128, 0xbf955555, v127
	v_mov_b32_e32 v127, v26
	v_or_b32_e32 v33, v29, v33
	v_mul_f32_e32 v29, 0x3f4a47b2, v30
	v_mul_f32_e32 v30, 0x3f4a47b2, v106
	;; [unrolled: 1-line block ×4, first 2 shown]
	v_fmac_f32_e32 v127, 0xbf955555, v131
	v_fma_f32 v129, v44, s6, -v29
	v_fmac_f32_e32 v29, 0x3d64c772, v32
	v_fma_f32 v130, v47, s6, -v30
	;; [unrolled: 2-line block ×4, first 2 shown]
	v_fmac_f32_e32 v126, 0x3eae86e6, v43
	v_add_f32_e32 v141, v29, v128
	v_add_f32_e32 v142, v30, v127
	v_fmac_f32_e32 v124, 0x3ee1c552, v35
	v_fmac_f32_e32 v126, 0x3ee1c552, v121
	v_add_f32_e32 v29, v126, v141
	v_sub_f32_e32 v30, v142, v124
	v_lshlrev_b32_e32 v106, 3, v33
	s_waitcnt lgkmcnt(0)
	; wave barrier
	ds_write2_b64 v106, v[25:26], v[29:30] offset1:16
	v_mul_f32_e32 v25, 0x3d64c772, v32
	v_mul_f32_e32 v26, 0x3d64c772, v120
	;; [unrolled: 1-line block ×4, first 2 shown]
	v_fma_f32 v25, v44, s7, -v25
	v_fma_f32 v26, v47, s7, -v26
	v_fmac_f32_e32 v32, 0xbeae86e6, v40
	v_fmac_f32_e32 v33, 0xbeae86e6, v43
	v_add_f32_e32 v36, v25, v128
	v_add_f32_e32 v39, v129, v128
	;; [unrolled: 1-line block ×4, first 2 shown]
	v_fmac_f32_e32 v131, 0x3ee1c552, v35
	v_fmac_f32_e32 v32, 0x3ee1c552, v35
	;; [unrolled: 1-line block ×4, first 2 shown]
	v_add_f32_e32 v25, v33, v39
	v_sub_f32_e32 v26, v43, v32
	v_sub_f32_e32 v29, v36, v140
	v_add_f32_e32 v30, v131, v40
	ds_write2_b64 v106, v[25:26], v[29:30] offset0:32 offset1:48
	v_add_f32_e32 v25, v140, v36
	v_sub_f32_e32 v26, v40, v131
	v_sub_f32_e32 v29, v39, v33
	v_add_f32_e32 v30, v32, v43
	v_add_f32_e32 v132, v37, v125
	v_add_f32_e32 v133, v41, v122
	v_add_f32_e32 v136, v38, v31
	v_add_f32_e32 v137, v42, v123
	ds_write2_b64 v106, v[25:26], v[29:30] offset0:64 offset1:80
	v_sub_f32_e32 v25, v141, v126
	v_add_f32_e32 v26, v124, v142
	v_add_f32_e32 v134, v45, v118
	;; [unrolled: 1-line block ×5, first 2 shown]
	ds_write_b64 v106, v[25:26] offset:768
	v_sub_f32_e32 v26, v38, v31
	v_sub_f32_e32 v29, v41, v122
	;; [unrolled: 1-line block ×3, first 2 shown]
	v_add_f32_e32 v135, v134, v135
	v_add_f32_e32 v139, v138, v139
	v_sub_f32_e32 v25, v37, v125
	v_sub_f32_e32 v30, v42, v123
	;; [unrolled: 1-line block ×3, first 2 shown]
	v_add_f32_e32 v40, v31, v29
	v_add_f32_e32 v27, v27, v135
	;; [unrolled: 1-line block ×3, first 2 shown]
	v_sub_f32_e32 v35, v132, v134
	v_sub_f32_e32 v38, v136, v138
	;; [unrolled: 1-line block ×5, first 2 shown]
	v_add_f32_e32 v40, v40, v25
	v_add_f32_e32 v25, v32, v30
	v_sub_f32_e32 v42, v32, v30
	v_sub_f32_e32 v33, v133, v132
	;; [unrolled: 1-line block ×7, first 2 shown]
	v_add_f32_e32 v26, v25, v26
	v_mov_b32_e32 v43, v27
	v_mov_b32_e32 v44, v28
	v_mul_f32_e32 v24, 0x3f4a47b2, v35
	v_mul_f32_e32 v25, 0x3f4a47b2, v38
	;; [unrolled: 1-line block ×4, first 2 shown]
	v_fmac_f32_e32 v43, 0xbf955555, v135
	v_fmac_f32_e32 v44, 0xbf955555, v139
	v_fma_f32 v41, v33, s6, -v24
	v_fmac_f32_e32 v24, 0x3d64c772, v36
	v_fma_f32 v42, v37, s6, -v25
	;; [unrolled: 2-line block ×4, first 2 shown]
	v_fmac_f32_e32 v38, 0x3eae86e6, v32
	v_add_f32_e32 v47, v24, v43
	v_add_f32_e32 v119, v25, v44
	v_fmac_f32_e32 v35, 0x3ee1c552, v40
	v_fmac_f32_e32 v38, 0x3ee1c552, v26
	v_add_f32_e32 v24, v38, v47
	v_sub_f32_e32 v25, v119, v35
	v_lshlrev_b32_e32 v118, 3, v34
	ds_write2_b64 v118, v[27:28], v[24:25] offset1:16
	v_mul_f32_e32 v24, 0x3d64c772, v36
	v_mul_f32_e32 v25, 0x3d64c772, v39
	;; [unrolled: 1-line block ×4, first 2 shown]
	v_fma_f32 v24, v33, s7, -v24
	v_fma_f32 v25, v37, s7, -v25
	v_fmac_f32_e32 v28, 0xbeae86e6, v31
	v_fmac_f32_e32 v29, 0xbeae86e6, v32
	v_add_f32_e32 v30, v24, v43
	v_add_f32_e32 v31, v41, v43
	;; [unrolled: 1-line block ×4, first 2 shown]
	v_fmac_f32_e32 v45, 0x3ee1c552, v40
	v_fmac_f32_e32 v28, 0x3ee1c552, v40
	;; [unrolled: 1-line block ×4, first 2 shown]
	v_add_f32_e32 v24, v29, v31
	v_sub_f32_e32 v25, v33, v28
	v_sub_f32_e32 v26, v30, v46
	v_add_f32_e32 v27, v45, v32
	ds_write2_b64 v118, v[24:25], v[26:27] offset0:32 offset1:48
	v_add_f32_e32 v24, v46, v30
	v_sub_f32_e32 v25, v32, v45
	v_sub_f32_e32 v26, v31, v29
	v_add_f32_e32 v27, v28, v33
	ds_write2_b64 v118, v[24:25], v[26:27] offset0:64 offset1:80
	v_add_f32_e32 v25, v35, v119
	v_mad_u64_u32 v[119:120], s[10:11], v88, 48, s[10:11]
	v_sub_f32_e32 v24, v47, v38
	ds_write_b64 v118, v[24:25] offset:768
	s_waitcnt lgkmcnt(0)
	; wave barrier
	s_waitcnt lgkmcnt(0)
	global_load_dwordx4 v[24:27], v[119:120], off offset:880
	global_load_dwordx4 v[28:31], v[119:120], off offset:3568
	;; [unrolled: 1-line block ×6, first 2 shown]
	ds_read2_b64 v[119:122], v85 offset0:112 offset1:168
	s_waitcnt vmcnt(5) lgkmcnt(0)
	v_mul_f32_e32 v123, v120, v25
	v_fma_f32 v127, v119, v24, -v123
	ds_read2_b64 v[123:126], v90 offset0:96 offset1:152
	v_mul_f32_e32 v128, v119, v25
	s_waitcnt vmcnt(4)
	v_mul_f32_e32 v119, v122, v29
	v_fma_f32 v135, v121, v28, -v119
	v_mul_f32_e32 v136, v121, v29
	s_waitcnt lgkmcnt(0)
	v_mul_f32_e32 v119, v124, v27
	v_fmac_f32_e32 v128, v120, v24
	v_fmac_f32_e32 v136, v122, v28
	v_fma_f32 v129, v123, v26, -v119
	ds_read2_b64 v[119:122], v91 offset0:80 offset1:136
	v_mul_f32_e32 v130, v123, v27
	v_mul_f32_e32 v123, v126, v31
	v_fma_f32 v137, v125, v30, -v123
	v_mul_f32_e32 v138, v125, v31
	s_waitcnt vmcnt(3) lgkmcnt(0)
	v_mul_f32_e32 v123, v120, v41
	v_fmac_f32_e32 v130, v124, v26
	v_fmac_f32_e32 v138, v126, v30
	v_fma_f32 v131, v119, v40, -v123
	ds_read2_b64 v[123:126], v91 offset0:192 offset1:248
	v_mul_f32_e32 v132, v119, v41
	s_waitcnt vmcnt(2)
	v_mul_f32_e32 v119, v122, v33
	v_fma_f32 v139, v121, v32, -v119
	v_mul_f32_e32 v140, v121, v33
	s_waitcnt lgkmcnt(0)
	v_mul_f32_e32 v119, v124, v43
	v_fmac_f32_e32 v132, v120, v40
	v_fmac_f32_e32 v140, v122, v32
	v_fma_f32 v133, v123, v42, -v119
	ds_read2_b64 v[119:122], v89 offset0:48 offset1:104
	v_mul_f32_e32 v134, v123, v43
	v_mul_f32_e32 v123, v126, v35
	v_fma_f32 v141, v125, v34, -v123
	v_mul_f32_e32 v142, v125, v35
	s_waitcnt vmcnt(1) lgkmcnt(0)
	v_mul_f32_e32 v123, v120, v45
	v_fmac_f32_e32 v134, v124, v42
	v_fmac_f32_e32 v142, v126, v34
	v_fma_f32 v143, v119, v44, -v123
	ds_read2_b64 v[123:126], v89 offset0:160 offset1:216
	v_mul_f32_e32 v144, v119, v45
	s_waitcnt vmcnt(0)
	v_mul_f32_e32 v119, v122, v37
	v_fma_f32 v145, v121, v36, -v119
	v_mul_f32_e32 v146, v121, v37
	s_waitcnt lgkmcnt(0)
	v_mul_f32_e32 v119, v124, v47
	v_fma_f32 v147, v123, v46, -v119
	v_mul_f32_e32 v123, v123, v47
	v_fmac_f32_e32 v123, v124, v46
	v_mul_f32_e32 v119, v126, v39
	v_add_f32_e32 v150, v127, v147
	v_add_f32_e32 v124, v129, v143
	v_fma_f32 v148, v125, v38, -v119
	v_add_f32_e32 v151, v131, v133
	v_add_f32_e32 v119, v124, v150
	v_fmac_f32_e32 v144, v120, v44
	v_fmac_f32_e32 v146, v122, v36
	v_mul_f32_e32 v149, v125, v39
	v_add_f32_e32 v125, v151, v119
	ds_read2_b64 v[119:122], v85 offset1:56
	v_fmac_f32_e32 v149, v126, v38
	v_add_f32_e32 v152, v128, v123
	v_add_f32_e32 v126, v130, v144
	;; [unrolled: 1-line block ×5, first 2 shown]
	s_waitcnt lgkmcnt(0)
	v_add_f32_e32 v119, v119, v125
	v_add_f32_e32 v120, v120, v154
	v_sub_f32_e32 v128, v128, v123
	v_sub_f32_e32 v123, v129, v143
	;; [unrolled: 1-line block ×6, first 2 shown]
	v_mov_b32_e32 v132, v119
	v_mov_b32_e32 v133, v120
	v_sub_f32_e32 v144, v126, v152
	v_sub_f32_e32 v147, v153, v126
	;; [unrolled: 1-line block ×3, first 2 shown]
	v_fmac_f32_e32 v132, 0xbf955555, v125
	v_fmac_f32_e32 v133, 0xbf955555, v154
	v_sub_f32_e32 v134, v124, v150
	v_sub_f32_e32 v143, v151, v124
	v_add_f32_e32 v124, v130, v123
	v_sub_f32_e32 v125, v130, v123
	v_sub_f32_e32 v154, v123, v127
	v_add_f32_e32 v123, v131, v129
	v_sub_f32_e32 v129, v129, v128
	v_mul_f32_e32 v166, 0xbf08b237, v126
	v_sub_f32_e32 v150, v150, v151
	v_fma_f32 v168, v129, s8, -v166
	v_sub_f32_e32 v151, v152, v153
	v_sub_f32_e32 v131, v128, v131
	v_mul_f32_e32 v150, 0x3f4a47b2, v150
	v_mul_f32_e32 v129, 0xbf5ff5aa, v129
	v_add_f32_e32 v163, v124, v127
	v_add_f32_e32 v164, v123, v128
	v_mul_f32_e32 v165, 0xbf08b237, v125
	v_mul_f32_e32 v123, 0x3d64c772, v143
	v_sub_f32_e32 v152, v127, v130
	v_mul_f32_e32 v151, 0x3f4a47b2, v151
	v_fma_f32 v127, v134, s6, -v150
	v_fmac_f32_e32 v129, 0xbeae86e6, v131
	v_add_f32_e32 v155, v135, v148
	v_add_f32_e32 v156, v137, v145
	;; [unrolled: 1-line block ×4, first 2 shown]
	v_fma_f32 v123, v134, s7, -v123
	v_mul_f32_e32 v124, 0x3d64c772, v147
	v_fma_f32 v167, v154, s8, -v165
	v_mul_f32_e32 v130, 0xbf5ff5aa, v154
	v_fma_f32 v128, v144, s6, -v151
	v_add_f32_e32 v134, v127, v132
	v_fmac_f32_e32 v129, 0x3ee1c552, v164
	v_fmac_f32_e32 v150, 0x3d64c772, v143
	;; [unrolled: 1-line block ×5, first 2 shown]
	v_add_f32_e32 v157, v139, v141
	v_add_f32_e32 v158, v156, v155
	v_add_f32_e32 v161, v140, v142
	v_add_f32_e32 v162, v160, v159
	v_fma_f32 v124, v144, s7, -v124
	v_add_f32_e32 v125, v123, v132
	v_fmac_f32_e32 v168, 0x3ee1c552, v164
	v_fmac_f32_e32 v130, 0xbeae86e6, v152
	v_add_f32_e32 v127, v129, v134
	v_sub_f32_e32 v129, v134, v129
	v_add_f32_e32 v134, v150, v132
	v_add_f32_e32 v143, v151, v133
	v_fmac_f32_e32 v165, 0x3ee1c552, v163
	v_fmac_f32_e32 v166, 0x3ee1c552, v164
	v_add_f32_e32 v158, v157, v158
	v_add_f32_e32 v162, v161, v162
	;; [unrolled: 1-line block ×3, first 2 shown]
	v_fmac_f32_e32 v167, 0x3ee1c552, v163
	v_sub_f32_e32 v123, v125, v168
	v_add_f32_e32 v125, v168, v125
	v_add_f32_e32 v144, v128, v133
	v_fmac_f32_e32 v130, 0x3ee1c552, v163
	v_add_f32_e32 v131, v166, v134
	v_sub_f32_e32 v132, v143, v165
	v_add_f32_e32 v121, v121, v158
	v_add_f32_e32 v122, v122, v162
	;; [unrolled: 1-line block ×3, first 2 shown]
	v_sub_f32_e32 v126, v126, v167
	v_sub_f32_e32 v128, v144, v130
	v_add_f32_e32 v130, v130, v144
	v_sub_f32_e32 v133, v134, v166
	v_add_f32_e32 v134, v165, v143
	ds_write_b64 v85, v[131:132] offset:896
	ds_write_b64 v85, v[127:128] offset:1792
	;; [unrolled: 1-line block ×6, first 2 shown]
	ds_write2_b64 v85, v[119:120], v[121:122] offset1:56
	v_sub_f32_e32 v119, v137, v145
	v_sub_f32_e32 v125, v141, v139
	;; [unrolled: 1-line block ×6, first 2 shown]
	v_mov_b32_e32 v128, v122
	v_sub_f32_e32 v132, v161, v160
	v_sub_f32_e32 v122, v125, v119
	v_mov_b32_e32 v127, v121
	v_sub_f32_e32 v130, v157, v156
	v_sub_f32_e32 v131, v160, v159
	v_add_f32_e32 v121, v125, v119
	v_sub_f32_e32 v133, v119, v123
	v_add_f32_e32 v119, v126, v120
	v_sub_f32_e32 v134, v126, v120
	v_sub_f32_e32 v135, v120, v124
	v_mul_f32_e32 v138, 0xbf08b237, v122
	v_mul_f32_e32 v120, 0x3d64c772, v132
	v_fmac_f32_e32 v128, 0xbf955555, v162
	v_sub_f32_e32 v129, v156, v155
	v_add_f32_e32 v136, v121, v123
	v_add_f32_e32 v137, v119, v124
	v_mul_f32_e32 v134, 0xbf08b237, v134
	v_mul_f32_e32 v119, 0x3d64c772, v130
	v_fma_f32 v120, v131, s7, -v120
	v_fma_f32 v139, v133, s8, -v138
	v_fmac_f32_e32 v127, 0xbf955555, v158
	v_fma_f32 v119, v129, s7, -v119
	v_add_f32_e32 v122, v120, v128
	v_fmac_f32_e32 v139, 0x3ee1c552, v136
	v_fma_f32 v140, v135, s8, -v134
	v_add_f32_e32 v121, v119, v127
	v_fmac_f32_e32 v140, 0x3ee1c552, v137
	v_add_f32_e32 v120, v139, v122
	v_sub_f32_e32 v122, v122, v139
	v_sub_f32_e32 v139, v155, v157
	;; [unrolled: 1-line block ×3, first 2 shown]
	v_add_f32_e32 v121, v140, v121
	v_sub_f32_e32 v140, v159, v161
	v_sub_f32_e32 v141, v123, v125
	;; [unrolled: 1-line block ×3, first 2 shown]
	v_mul_f32_e32 v139, 0x3f4a47b2, v139
	v_mul_f32_e32 v125, 0xbf5ff5aa, v135
	;; [unrolled: 1-line block ×3, first 2 shown]
	v_fma_f32 v123, v129, s6, -v139
	v_fmac_f32_e32 v125, 0xbeae86e6, v142
	v_mul_f32_e32 v126, 0xbf5ff5aa, v133
	v_fma_f32 v124, v131, s6, -v140
	v_add_f32_e32 v129, v123, v127
	v_fmac_f32_e32 v125, 0x3ee1c552, v137
	v_fmac_f32_e32 v139, 0x3d64c772, v130
	;; [unrolled: 1-line block ×6, first 2 shown]
	v_add_f32_e32 v123, v125, v129
	v_sub_f32_e32 v125, v129, v125
	v_add_f32_e32 v129, v139, v127
	v_add_f32_e32 v130, v140, v128
	v_fmac_f32_e32 v138, 0x3ee1c552, v136
	v_fmac_f32_e32 v134, 0x3ee1c552, v137
	v_add_f32_e32 v131, v124, v128
	v_fmac_f32_e32 v126, 0x3ee1c552, v136
	v_add_f32_e32 v127, v134, v129
	v_sub_f32_e32 v128, v130, v138
	v_sub_f32_e32 v124, v131, v126
	v_add_f32_e32 v126, v126, v131
	v_sub_f32_e32 v129, v129, v134
	v_add_f32_e32 v130, v138, v130
	ds_write_b64 v85, v[127:128] offset:1344
	ds_write_b64 v85, v[123:124] offset:2240
	;; [unrolled: 1-line block ×6, first 2 shown]
	s_waitcnt lgkmcnt(0)
	; wave barrier
	s_waitcnt lgkmcnt(0)
	global_load_dwordx2 v[83:84], v[83:84], off offset:2176
	s_movk_i32 s8, 0x1880
	v_add_co_u32_e32 v119, vcc, s8, v92
	v_addc_co_u32_e32 v120, vcc, 0, v93, vcc
	global_load_dwordx2 v[127:128], v[119:120], off offset:448
	global_load_dwordx2 v[129:130], v[119:120], off offset:3584
	global_load_dwordx2 v[131:132], v[119:120], off offset:4032
	global_load_dwordx2 v[133:134], v[119:120], off offset:896
	global_load_dwordx2 v[135:136], v[119:120], off offset:1344
	s_movk_i32 s8, 0x2000
	v_add_co_u32_e32 v92, vcc, s8, v92
	v_addc_co_u32_e32 v93, vcc, 0, v93, vcc
	global_load_dwordx2 v[137:138], v[92:93], off offset:2560
	global_load_dwordx2 v[139:140], v[92:93], off offset:3008
	;; [unrolled: 1-line block ×7, first 2 shown]
	s_nop 0
	global_load_dwordx2 v[92:93], v[92:93], off offset:3904
	ds_read2_b64 v[119:122], v85 offset1:56
	s_mov_b32 s8, 0xbf5ff5aa
	s_waitcnt vmcnt(13) lgkmcnt(0)
	v_mul_f32_e32 v123, v120, v84
	v_mul_f32_e32 v124, v119, v84
	v_fma_f32 v123, v119, v83, -v123
	v_fmac_f32_e32 v124, v120, v83
	ds_write_b64 v85, v[123:124]
	ds_read2_b64 v[123:126], v91 offset0:192 offset1:248
	s_waitcnt vmcnt(12)
	v_mul_f32_e32 v83, v122, v128
	v_mul_f32_e32 v84, v121, v128
	v_fma_f32 v83, v121, v127, -v83
	v_fmac_f32_e32 v84, v122, v127
	s_waitcnt vmcnt(11) lgkmcnt(0)
	v_mul_f32_e32 v119, v124, v130
	v_fma_f32 v127, v123, v129, -v119
	ds_read2_b64 v[119:122], v85 offset0:112 offset1:168
	v_mul_f32_e32 v128, v123, v130
	s_waitcnt vmcnt(10)
	v_mul_f32_e32 v123, v126, v132
	v_fmac_f32_e32 v128, v124, v129
	v_fma_f32 v129, v125, v131, -v123
	v_mul_f32_e32 v130, v125, v132
	s_waitcnt vmcnt(9) lgkmcnt(0)
	v_mul_f32_e32 v123, v120, v134
	v_fmac_f32_e32 v130, v126, v131
	v_fma_f32 v131, v119, v133, -v123
	ds_read2_b64 v[123:126], v89 offset0:48 offset1:104
	v_mul_f32_e32 v132, v119, v134
	s_waitcnt vmcnt(8)
	v_mul_f32_e32 v119, v122, v136
	v_fmac_f32_e32 v132, v120, v133
	v_fma_f32 v133, v121, v135, -v119
	v_mul_f32_e32 v134, v121, v136
	s_waitcnt vmcnt(7) lgkmcnt(0)
	v_mul_f32_e32 v119, v124, v138
	v_fmac_f32_e32 v134, v122, v135
	;; [unrolled: 11-line block ×4, first 2 shown]
	v_fma_f32 v143, v125, v145, -v119
	ds_read2_b64 v[119:122], v89 offset0:160 offset1:216
	v_mul_f32_e32 v144, v125, v146
	v_fmac_f32_e32 v144, v126, v145
	s_waitcnt vmcnt(2)
	v_mul_f32_e32 v125, v124, v148
	v_mul_f32_e32 v126, v123, v148
	v_fma_f32 v125, v123, v147, -v125
	v_fmac_f32_e32 v126, v124, v147
	s_waitcnt vmcnt(1) lgkmcnt(0)
	v_mul_f32_e32 v123, v120, v150
	v_mul_f32_e32 v124, v119, v150
	v_fma_f32 v123, v119, v149, -v123
	v_fmac_f32_e32 v124, v120, v149
	s_waitcnt vmcnt(0)
	v_mul_f32_e32 v119, v122, v93
	v_mul_f32_e32 v120, v121, v93
	v_fma_f32 v119, v121, v92, -v119
	v_fmac_f32_e32 v120, v122, v92
	v_add_u32_e32 v92, 0xc00, v85
	ds_write2_b64 v92, v[129:130], v[135:136] offset0:120 offset1:176
	ds_write2_b64 v91, v[143:144], v[127:128] offset0:136 offset1:192
	;; [unrolled: 1-line block ×6, first 2 shown]
	ds_write_b64 v85, v[119:120] offset:5824
	s_waitcnt lgkmcnt(0)
	; wave barrier
	s_waitcnt lgkmcnt(0)
	ds_read2_b64 v[119:122], v85 offset1:56
	ds_read2_b64 v[123:126], v91 offset0:80 offset1:136
	ds_read2_b64 v[127:130], v91 offset0:192 offset1:248
	s_waitcnt lgkmcnt(1)
	v_sub_f32_e32 v133, v119, v125
	v_sub_f32_e32 v134, v120, v126
	s_waitcnt lgkmcnt(0)
	v_sub_f32_e32 v127, v121, v127
	v_sub_f32_e32 v128, v122, v128
	v_fma_f32 v131, v119, 2.0, -v133
	v_fma_f32 v132, v120, 2.0, -v134
	;; [unrolled: 1-line block ×4, first 2 shown]
	ds_read2_b64 v[119:122], v85 offset0:112 offset1:168
	ds_read2_b64 v[135:138], v89 offset0:48 offset1:104
	;; [unrolled: 1-line block ×4, first 2 shown]
	s_waitcnt lgkmcnt(0)
	; wave barrier
	s_waitcnt lgkmcnt(0)
	ds_write_b128 v110, v[131:134]
	ds_write_b128 v110, v[125:128] offset:896
	v_sub_f32_e32 v131, v121, v135
	v_sub_f32_e32 v132, v122, v136
	;; [unrolled: 1-line block ×4, first 2 shown]
	v_fma_f32 v129, v121, 2.0, -v131
	v_fma_f32 v130, v122, 2.0, -v132
	v_sub_f32_e32 v121, v139, v137
	v_sub_f32_e32 v122, v140, v138
	v_fma_f32 v125, v119, 2.0, -v127
	v_fma_f32 v126, v120, 2.0, -v128
	;; [unrolled: 1-line block ×4, first 2 shown]
	v_sub_f32_e32 v135, v141, v143
	v_sub_f32_e32 v136, v142, v144
	;; [unrolled: 1-line block ×4, first 2 shown]
	v_fma_f32 v133, v141, 2.0, -v135
	v_fma_f32 v134, v142, 2.0, -v136
	;; [unrolled: 1-line block ×4, first 2 shown]
	ds_write_b128 v94, v[125:128] offset:1792
	ds_write_b128 v94, v[129:132] offset:2688
	;; [unrolled: 1-line block ×5, first 2 shown]
	s_waitcnt lgkmcnt(0)
	; wave barrier
	s_waitcnt lgkmcnt(0)
	ds_read2_b64 v[119:122], v91 offset0:192 offset1:248
	ds_read2_b64 v[123:126], v89 offset0:48 offset1:104
	s_waitcnt lgkmcnt(1)
	v_mul_f32_e32 v83, v82, v119
	v_mul_f32_e32 v94, v82, v120
	v_fma_f32 v110, v81, v120, -v83
	v_mul_f32_e32 v129, v82, v122
	v_mul_f32_e32 v83, v82, v121
	v_fmac_f32_e32 v94, v81, v119
	v_fmac_f32_e32 v129, v81, v121
	v_fma_f32 v130, v81, v122, -v83
	ds_read2_b64 v[119:122], v89 offset0:160 offset1:216
	s_waitcnt lgkmcnt(1)
	v_mul_f32_e32 v83, v82, v123
	v_mul_f32_e32 v131, v82, v124
	v_fma_f32 v132, v81, v124, -v83
	v_mul_f32_e32 v133, v82, v126
	v_mul_f32_e32 v83, v82, v125
	v_fmac_f32_e32 v131, v81, v123
	v_fmac_f32_e32 v133, v81, v125
	v_fma_f32 v134, v81, v126, -v83
	s_waitcnt lgkmcnt(0)
	v_mul_f32_e32 v83, v82, v119
	ds_read2_b64 v[123:126], v91 offset0:80 offset1:136
	v_mul_f32_e32 v135, v82, v120
	v_fma_f32 v136, v81, v120, -v83
	v_mul_f32_e32 v137, v82, v122
	v_mul_f32_e32 v83, v82, v121
	v_fmac_f32_e32 v135, v81, v119
	v_fmac_f32_e32 v137, v81, v121
	v_fma_f32 v138, v81, v122, -v83
	ds_read2_b64 v[119:122], v85 offset1:56
	s_waitcnt lgkmcnt(1)
	v_mul_f32_e32 v83, v82, v126
	v_mul_f32_e32 v82, v82, v125
	v_fmac_f32_e32 v83, v81, v125
	v_fma_f32 v81, v81, v126, -v82
	s_waitcnt lgkmcnt(0)
	v_sub_f32_e32 v92, v119, v83
	v_sub_f32_e32 v93, v120, v81
	ds_read2_b64 v[81:84], v85 offset0:112 offset1:168
	ds_read2_b64 v[125:128], v90 offset0:96 offset1:152
	v_fma_f32 v119, v119, 2.0, -v92
	v_fma_f32 v120, v120, 2.0, -v93
	s_waitcnt lgkmcnt(0)
	; wave barrier
	s_waitcnt lgkmcnt(0)
	ds_write2_b64 v99, v[119:120], v[92:93] offset1:2
	v_sub_f32_e32 v92, v121, v94
	v_sub_f32_e32 v93, v122, v110
	v_fma_f32 v119, v121, 2.0, -v92
	v_fma_f32 v120, v122, 2.0, -v93
	ds_write2_b64 v102, v[119:120], v[92:93] offset1:2
	v_sub_f32_e32 v92, v81, v129
	v_sub_f32_e32 v93, v82, v130
	v_fma_f32 v81, v81, 2.0, -v92
	v_fma_f32 v82, v82, 2.0, -v93
	;; [unrolled: 5-line block ×6, first 2 shown]
	ds_write2_b64 v95, v[83:84], v[81:82] offset1:2
	s_waitcnt lgkmcnt(0)
	; wave barrier
	s_waitcnt lgkmcnt(0)
	ds_read2_b64 v[81:84], v91 offset0:192 offset1:248
	ds_read2_b64 v[92:95], v89 offset0:48 offset1:104
	s_waitcnt lgkmcnt(1)
	v_mul_f32_e32 v98, v78, v82
	v_fmac_f32_e32 v98, v77, v81
	v_mul_f32_e32 v81, v78, v81
	v_fma_f32 v99, v77, v82, -v81
	v_mul_f32_e32 v81, v78, v83
	v_mul_f32_e32 v101, v78, v84
	v_fma_f32 v102, v77, v84, -v81
	s_waitcnt lgkmcnt(0)
	v_mul_f32_e32 v81, v78, v92
	v_fmac_f32_e32 v101, v77, v83
	v_fma_f32 v123, v77, v93, -v81
	ds_read2_b64 v[81:84], v89 offset0:160 offset1:216
	v_mul_f32_e32 v110, v78, v93
	v_fmac_f32_e32 v110, v77, v92
	v_mul_f32_e32 v124, v78, v95
	v_mul_f32_e32 v92, v78, v94
	s_waitcnt lgkmcnt(0)
	v_mul_f32_e32 v126, v78, v82
	v_fmac_f32_e32 v124, v77, v94
	v_fma_f32 v125, v77, v95, -v92
	v_fmac_f32_e32 v126, v77, v81
	v_mul_f32_e32 v81, v78, v81
	ds_read2_b64 v[92:95], v91 offset0:80 offset1:136
	v_fma_f32 v127, v77, v82, -v81
	v_mul_f32_e32 v128, v78, v84
	v_mul_f32_e32 v81, v78, v83
	v_fmac_f32_e32 v128, v77, v83
	v_fma_f32 v129, v77, v84, -v81
	ds_read2_b64 v[81:84], v85 offset1:56
	s_waitcnt lgkmcnt(1)
	v_mul_f32_e32 v96, v78, v95
	v_mul_f32_e32 v78, v78, v94
	v_fmac_f32_e32 v96, v77, v94
	v_fma_f32 v78, v77, v95, -v78
	s_waitcnt lgkmcnt(0)
	v_sub_f32_e32 v77, v81, v96
	v_sub_f32_e32 v78, v82, v78
	ds_read2_b64 v[94:97], v85 offset0:112 offset1:168
	ds_read2_b64 v[119:122], v90 offset0:96 offset1:152
	v_fma_f32 v81, v81, 2.0, -v77
	v_fma_f32 v82, v82, 2.0, -v78
	s_waitcnt lgkmcnt(0)
	; wave barrier
	s_waitcnt lgkmcnt(0)
	ds_write2_b64 v109, v[81:82], v[77:78] offset1:4
	v_sub_f32_e32 v77, v83, v98
	v_sub_f32_e32 v78, v84, v99
	v_fma_f32 v81, v83, 2.0, -v77
	v_fma_f32 v82, v84, 2.0, -v78
	ds_write2_b64 v108, v[81:82], v[77:78] offset1:4
	v_sub_f32_e32 v77, v94, v101
	v_sub_f32_e32 v78, v95, v102
	v_fma_f32 v81, v94, 2.0, -v77
	v_fma_f32 v82, v95, 2.0, -v78
	;; [unrolled: 5-line block ×6, first 2 shown]
	ds_write2_b64 v100, v[81:82], v[77:78] offset1:4
	s_waitcnt lgkmcnt(0)
	; wave barrier
	s_waitcnt lgkmcnt(0)
	ds_read2_b64 v[81:84], v91 offset0:192 offset1:248
	ds_read2_b64 v[92:95], v89 offset0:48 offset1:104
	s_waitcnt lgkmcnt(1)
	v_mul_f32_e32 v77, v80, v81
	v_mul_f32_e32 v100, v80, v82
	v_fma_f32 v101, v79, v82, -v77
	v_mul_f32_e32 v102, v80, v84
	v_mul_f32_e32 v77, v80, v83
	v_fmac_f32_e32 v100, v79, v81
	v_fmac_f32_e32 v102, v79, v83
	v_fma_f32 v103, v79, v84, -v77
	ds_read2_b64 v[81:84], v89 offset0:160 offset1:216
	s_waitcnt lgkmcnt(1)
	v_mul_f32_e32 v77, v80, v92
	v_mul_f32_e32 v104, v80, v93
	v_fma_f32 v105, v79, v93, -v77
	v_mul_f32_e32 v107, v80, v95
	v_mul_f32_e32 v77, v80, v94
	v_fmac_f32_e32 v104, v79, v92
	v_fmac_f32_e32 v107, v79, v94
	v_fma_f32 v108, v79, v95, -v77
	s_waitcnt lgkmcnt(0)
	v_mul_f32_e32 v77, v80, v81
	ds_read2_b64 v[92:95], v91 offset0:80 offset1:136
	v_mul_f32_e32 v109, v80, v82
	v_fma_f32 v110, v79, v82, -v77
	v_mul_f32_e32 v119, v80, v84
	v_mul_f32_e32 v77, v80, v83
	v_fmac_f32_e32 v109, v79, v81
	v_fmac_f32_e32 v119, v79, v83
	v_fma_f32 v120, v79, v84, -v77
	ds_read2_b64 v[81:84], v85 offset1:56
	s_waitcnt lgkmcnt(1)
	v_mul_f32_e32 v77, v80, v95
	v_mul_f32_e32 v78, v80, v94
	v_fmac_f32_e32 v77, v79, v94
	v_fma_f32 v78, v79, v95, -v78
	s_waitcnt lgkmcnt(0)
	v_sub_f32_e32 v98, v81, v77
	v_sub_f32_e32 v99, v82, v78
	ds_read2_b64 v[77:80], v85 offset0:112 offset1:168
	ds_read2_b64 v[94:97], v90 offset0:96 offset1:152
	v_fma_f32 v81, v81, 2.0, -v98
	v_fma_f32 v82, v82, 2.0, -v99
	s_waitcnt lgkmcnt(0)
	; wave barrier
	s_waitcnt lgkmcnt(0)
	ds_write2_b64 v117, v[81:82], v[98:99] offset1:8
	v_sub_f32_e32 v81, v83, v100
	v_sub_f32_e32 v82, v84, v101
	v_fma_f32 v83, v83, 2.0, -v81
	v_fma_f32 v84, v84, 2.0, -v82
	ds_write2_b64 v116, v[83:84], v[81:82] offset1:8
	v_sub_f32_e32 v81, v77, v102
	v_sub_f32_e32 v82, v78, v103
	v_fma_f32 v77, v77, 2.0, -v81
	v_fma_f32 v78, v78, 2.0, -v82
	;; [unrolled: 5-line block ×6, first 2 shown]
	ds_write2_b64 v111, v[79:80], v[77:78] offset1:8
	s_waitcnt lgkmcnt(0)
	; wave barrier
	s_waitcnt lgkmcnt(0)
	ds_read2_b64 v[77:80], v85 offset0:112 offset1:168
	ds_read2_b64 v[81:84], v90 offset0:96 offset1:152
	s_waitcnt lgkmcnt(1)
	v_mul_f32_e32 v92, v17, v78
	v_mul_f32_e32 v17, v17, v77
	v_fmac_f32_e32 v92, v16, v77
	v_fma_f32 v77, v16, v78, -v17
	s_waitcnt lgkmcnt(0)
	v_mul_f32_e32 v78, v19, v82
	v_mul_f32_e32 v16, v19, v81
	v_fmac_f32_e32 v78, v18, v81
	v_fma_f32 v81, v18, v82, -v16
	v_mul_f32_e32 v82, v9, v80
	v_mul_f32_e32 v9, v9, v79
	v_fmac_f32_e32 v82, v8, v79
	v_fma_f32 v79, v8, v80, -v9
	v_mul_f32_e32 v80, v11, v84
	ds_read2_b64 v[16:19], v91 offset0:80 offset1:136
	v_mul_f32_e32 v8, v11, v83
	v_fmac_f32_e32 v80, v10, v83
	v_fma_f32 v83, v10, v84, -v8
	ds_read2_b64 v[8:11], v91 offset0:192 offset1:248
	s_waitcnt lgkmcnt(1)
	v_mul_f32_e32 v84, v13, v17
	v_mul_f32_e32 v13, v13, v16
	v_fmac_f32_e32 v84, v12, v16
	v_fma_f32 v16, v12, v17, -v13
	s_waitcnt lgkmcnt(0)
	v_mul_f32_e32 v17, v15, v9
	v_fmac_f32_e32 v17, v14, v8
	v_mul_f32_e32 v8, v15, v8
	v_fma_f32 v8, v14, v9, -v8
	v_mul_f32_e32 v9, v1, v19
	v_mul_f32_e32 v1, v1, v18
	v_fmac_f32_e32 v9, v0, v18
	v_fma_f32 v18, v0, v19, -v1
	v_mul_f32_e32 v19, v3, v11
	ds_read2_b64 v[12:15], v89 offset0:48 offset1:104
	v_mul_f32_e32 v0, v3, v10
	v_fmac_f32_e32 v19, v2, v10
	v_fma_f32 v10, v2, v11, -v0
	ds_read2_b64 v[0:3], v89 offset0:160 offset1:216
	s_waitcnt lgkmcnt(1)
	v_mul_f32_e32 v11, v5, v13
	v_mul_f32_e32 v5, v5, v12
	v_fmac_f32_e32 v11, v4, v12
	v_fma_f32 v4, v4, v13, -v5
	s_waitcnt lgkmcnt(0)
	v_mul_f32_e32 v5, v7, v1
	v_fmac_f32_e32 v5, v6, v0
	v_mul_f32_e32 v0, v7, v0
	v_fma_f32 v6, v6, v1, -v0
	v_mul_f32_e32 v7, v21, v15
	v_mul_f32_e32 v0, v21, v14
	v_fmac_f32_e32 v7, v20, v14
	v_fma_f32 v12, v20, v15, -v0
	v_mul_f32_e32 v0, v23, v2
	v_add_f32_e32 v15, v92, v5
	v_add_f32_e32 v20, v78, v11
	v_mul_f32_e32 v13, v23, v3
	v_fma_f32 v14, v22, v3, -v0
	v_add_f32_e32 v21, v84, v17
	v_add_f32_e32 v0, v20, v15
	v_fmac_f32_e32 v13, v22, v2
	v_add_f32_e32 v22, v21, v0
	ds_read2_b64 v[0:3], v85 offset1:56
	v_add_f32_e32 v23, v77, v6
	v_add_f32_e32 v93, v81, v4
	;; [unrolled: 1-line block ×4, first 2 shown]
	v_sub_f32_e32 v11, v78, v11
	v_sub_f32_e32 v17, v17, v84
	v_add_f32_e32 v95, v94, v95
	s_waitcnt lgkmcnt(0)
	v_add_f32_e32 v0, v0, v22
	v_sub_f32_e32 v5, v92, v5
	v_sub_f32_e32 v4, v81, v4
	;; [unrolled: 1-line block ×3, first 2 shown]
	v_add_f32_e32 v78, v17, v11
	v_add_f32_e32 v1, v1, v95
	v_sub_f32_e32 v6, v77, v6
	v_sub_f32_e32 v16, v20, v15
	;; [unrolled: 1-line block ×10, first 2 shown]
	v_add_f32_e32 v78, v78, v5
	v_add_f32_e32 v5, v8, v4
	v_sub_f32_e32 v84, v8, v4
	v_mov_b32_e32 v93, v0
	v_sub_f32_e32 v8, v6, v8
	v_sub_f32_e32 v92, v4, v6
	v_add_f32_e32 v6, v5, v6
	v_fmac_f32_e32 v93, 0xbf955555, v22
	v_mov_b32_e32 v22, v1
	v_mul_f32_e32 v4, 0x3f4a47b2, v15
	v_mul_f32_e32 v5, 0x3f4a47b2, v23
	;; [unrolled: 1-line block ×4, first 2 shown]
	v_fmac_f32_e32 v22, 0xbf955555, v95
	v_fma_f32 v81, v16, s6, -v4
	v_fmac_f32_e32 v4, 0x3d64c772, v20
	v_fma_f32 v84, v21, s6, -v5
	;; [unrolled: 2-line block ×4, first 2 shown]
	v_fmac_f32_e32 v23, 0xbeae86e6, v8
	v_add_f32_e32 v104, v4, v93
	v_add_f32_e32 v105, v5, v22
	v_fmac_f32_e32 v15, 0xbee1c552, v78
	v_fmac_f32_e32 v23, 0xbee1c552, v6
	v_add_f32_e32 v4, v23, v104
	v_sub_f32_e32 v5, v105, v15
	s_waitcnt lgkmcnt(0)
	; wave barrier
	ds_write2_b64 v106, v[0:1], v[4:5] offset1:16
	v_mul_f32_e32 v0, 0x3d64c772, v20
	v_fma_f32 v0, v16, s7, -v0
	v_mul_f32_e32 v1, 0x3d64c772, v77
	v_mul_f32_e32 v11, 0x3f5ff5aa, v11
	;; [unrolled: 1-line block ×3, first 2 shown]
	v_fma_f32 v1, v21, s7, -v1
	v_fmac_f32_e32 v11, 0x3eae86e6, v17
	v_fmac_f32_e32 v16, 0x3eae86e6, v8
	v_add_f32_e32 v8, v0, v93
	v_add_f32_e32 v17, v81, v93
	;; [unrolled: 1-line block ×4, first 2 shown]
	v_fmac_f32_e32 v94, 0xbee1c552, v78
	v_fmac_f32_e32 v11, 0xbee1c552, v78
	;; [unrolled: 1-line block ×4, first 2 shown]
	v_add_f32_e32 v100, v79, v14
	v_add_f32_e32 v101, v83, v12
	v_add_f32_e32 v0, v16, v17
	v_sub_f32_e32 v1, v21, v11
	v_sub_f32_e32 v4, v8, v95
	v_add_f32_e32 v5, v94, v20
	v_add_f32_e32 v96, v82, v13
	;; [unrolled: 1-line block ×5, first 2 shown]
	ds_write2_b64 v106, v[0:1], v[4:5] offset0:32 offset1:48
	v_add_f32_e32 v0, v95, v8
	v_sub_f32_e32 v1, v20, v94
	v_sub_f32_e32 v4, v17, v16
	v_add_f32_e32 v5, v11, v21
	v_add_f32_e32 v98, v9, v19
	;; [unrolled: 1-line block ×4, first 2 shown]
	ds_write2_b64 v106, v[0:1], v[4:5] offset0:64 offset1:80
	v_sub_f32_e32 v4, v80, v7
	v_sub_f32_e32 v9, v19, v9
	v_add_f32_e32 v99, v98, v99
	v_add_f32_e32 v3, v3, v103
	v_sub_f32_e32 v8, v82, v13
	v_sub_f32_e32 v11, v79, v14
	;; [unrolled: 1-line block ×6, first 2 shown]
	v_add_f32_e32 v2, v2, v99
	v_sub_f32_e32 v0, v104, v23
	v_add_f32_e32 v1, v15, v105
	v_mov_b32_e32 v13, v3
	v_sub_f32_e32 v15, v98, v97
	v_sub_f32_e32 v16, v101, v100
	v_add_f32_e32 v6, v9, v4
	v_sub_f32_e32 v18, v4, v8
	v_add_f32_e32 v4, v10, v5
	v_sub_f32_e32 v19, v10, v5
	v_sub_f32_e32 v20, v5, v11
	v_mul_f32_e32 v23, 0x3f08b237, v7
	v_mul_f32_e32 v5, 0x3d64c772, v17
	v_mov_b32_e32 v12, v2
	v_fmac_f32_e32 v13, 0xbf955555, v103
	v_sub_f32_e32 v14, v97, v96
	v_add_f32_e32 v21, v6, v8
	v_add_f32_e32 v22, v4, v11
	v_mul_f32_e32 v19, 0x3f08b237, v19
	v_mul_f32_e32 v4, 0x3d64c772, v15
	v_fma_f32 v5, v16, s7, -v5
	v_fma_f32 v77, v18, s8, -v23
	v_fmac_f32_e32 v12, 0xbf955555, v99
	v_fma_f32 v4, v14, s7, -v4
	v_add_f32_e32 v7, v5, v13
	v_fmac_f32_e32 v77, 0xbee1c552, v21
	v_fma_f32 v78, v20, s8, -v19
	v_add_f32_e32 v6, v4, v12
	v_fmac_f32_e32 v78, 0xbee1c552, v22
	v_add_f32_e32 v5, v77, v7
	v_sub_f32_e32 v7, v7, v77
	v_sub_f32_e32 v77, v96, v98
	;; [unrolled: 1-line block ×3, first 2 shown]
	v_add_f32_e32 v6, v78, v6
	v_sub_f32_e32 v78, v100, v102
	v_sub_f32_e32 v80, v11, v10
	v_mul_f32_e32 v77, 0x3f4a47b2, v77
	v_mul_f32_e32 v10, 0x3f5ff5aa, v20
	v_sub_f32_e32 v79, v8, v9
	v_mul_f32_e32 v78, 0x3f4a47b2, v78
	v_mul_f32_e32 v11, 0x3f5ff5aa, v18
	v_fma_f32 v8, v14, s6, -v77
	v_fmac_f32_e32 v10, 0x3eae86e6, v80
	v_fma_f32 v9, v16, s6, -v78
	v_fmac_f32_e32 v11, 0x3eae86e6, v79
	v_add_f32_e32 v14, v8, v12
	v_fmac_f32_e32 v10, 0xbee1c552, v22
	v_fmac_f32_e32 v77, 0x3d64c772, v15
	;; [unrolled: 1-line block ×5, first 2 shown]
	v_add_f32_e32 v16, v9, v13
	v_fmac_f32_e32 v11, 0xbee1c552, v21
	v_add_f32_e32 v8, v10, v14
	v_sub_f32_e32 v10, v14, v10
	v_add_f32_e32 v14, v77, v12
	v_add_f32_e32 v15, v78, v13
	v_fmac_f32_e32 v23, 0xbee1c552, v21
	v_fmac_f32_e32 v19, 0xbee1c552, v22
	v_sub_f32_e32 v9, v16, v11
	v_add_f32_e32 v11, v11, v16
	v_add_f32_e32 v12, v19, v14
	v_sub_f32_e32 v13, v15, v23
	v_sub_f32_e32 v14, v14, v19
	v_add_f32_e32 v15, v23, v15
	ds_write_b64 v106, v[0:1] offset:768
	ds_write2_b64 v118, v[2:3], v[12:13] offset1:16
	ds_write2_b64 v118, v[8:9], v[4:5] offset0:32 offset1:48
	ds_write2_b64 v118, v[6:7], v[10:11] offset0:64 offset1:80
	ds_write_b64 v118, v[14:15] offset:768
	s_waitcnt lgkmcnt(0)
	; wave barrier
	s_waitcnt lgkmcnt(0)
	ds_read2_b64 v[0:3], v85 offset0:112 offset1:168
	ds_read2_b64 v[4:7], v85 offset1:56
	ds_read2_b64 v[8:11], v90 offset0:96 offset1:152
	v_mad_u64_u32 v[12:13], s[10:11], s2, v64, 0
	s_waitcnt lgkmcnt(2)
	v_mul_f32_e32 v14, v25, v1
	v_fmac_f32_e32 v14, v24, v0
	v_mul_f32_e32 v0, v25, v0
	v_fma_f32 v15, v24, v1, -v0
	s_waitcnt lgkmcnt(0)
	v_mul_f32_e32 v0, v27, v8
	v_fma_f32 v17, v26, v9, -v0
	v_mul_f32_e32 v18, v29, v3
	v_mul_f32_e32 v0, v29, v2
	;; [unrolled: 1-line block ×3, first 2 shown]
	v_fmac_f32_e32 v18, v28, v2
	v_fma_f32 v19, v28, v3, -v0
	ds_read2_b64 v[0:3], v91 offset0:80 offset1:136
	v_fmac_f32_e32 v16, v26, v8
	v_mul_f32_e32 v20, v31, v11
	v_mul_f32_e32 v8, v31, v10
	v_fmac_f32_e32 v20, v30, v10
	v_fma_f32 v21, v30, v11, -v8
	ds_read2_b64 v[8:11], v91 offset0:192 offset1:248
	s_waitcnt lgkmcnt(1)
	v_mul_f32_e32 v22, v41, v1
	v_fmac_f32_e32 v22, v40, v0
	v_mul_f32_e32 v0, v41, v0
	v_fma_f32 v23, v40, v1, -v0
	s_waitcnt lgkmcnt(0)
	v_mul_f32_e32 v0, v43, v8
	v_fma_f32 v25, v42, v9, -v0
	v_mul_f32_e32 v26, v33, v3
	v_mul_f32_e32 v0, v33, v2
	;; [unrolled: 1-line block ×3, first 2 shown]
	v_fmac_f32_e32 v26, v32, v2
	v_fma_f32 v27, v32, v3, -v0
	ds_read2_b64 v[0:3], v89 offset0:48 offset1:104
	v_fmac_f32_e32 v24, v42, v8
	v_mul_f32_e32 v28, v35, v11
	v_mul_f32_e32 v8, v35, v10
	v_fmac_f32_e32 v28, v34, v10
	v_fma_f32 v29, v34, v11, -v8
	ds_read2_b64 v[8:11], v89 offset0:160 offset1:216
	s_waitcnt lgkmcnt(1)
	v_mul_f32_e32 v30, v45, v1
	v_fmac_f32_e32 v30, v44, v0
	v_mul_f32_e32 v0, v45, v0
	v_mul_f32_e32 v31, v37, v3
	v_fma_f32 v0, v44, v1, -v0
	s_waitcnt lgkmcnt(0)
	v_mul_f32_e32 v1, v47, v9
	v_fmac_f32_e32 v31, v36, v2
	v_mul_f32_e32 v2, v37, v2
	v_fmac_f32_e32 v1, v46, v8
	v_mul_f32_e32 v8, v47, v8
	v_fma_f32 v32, v36, v3, -v2
	v_mul_f32_e32 v2, v39, v10
	v_fma_f32 v8, v46, v9, -v8
	v_mul_f32_e32 v33, v39, v11
	v_fma_f32 v34, v38, v11, -v2
	v_add_f32_e32 v2, v14, v1
	v_add_f32_e32 v9, v16, v30
	v_fmac_f32_e32 v33, v38, v10
	v_add_f32_e32 v3, v15, v8
	v_sub_f32_e32 v1, v14, v1
	v_add_f32_e32 v10, v17, v0
	v_sub_f32_e32 v11, v16, v30
	v_add_f32_e32 v14, v22, v24
	v_sub_f32_e32 v16, v24, v22
	v_add_f32_e32 v22, v9, v2
	v_sub_f32_e32 v8, v15, v8
	v_sub_f32_e32 v0, v17, v0
	v_add_f32_e32 v15, v23, v25
	v_sub_f32_e32 v17, v25, v23
	v_add_f32_e32 v23, v10, v3
	v_sub_f32_e32 v24, v9, v2
	v_sub_f32_e32 v2, v2, v14
	;; [unrolled: 1-line block ×3, first 2 shown]
	v_add_f32_e32 v14, v14, v22
	v_sub_f32_e32 v25, v10, v3
	v_sub_f32_e32 v3, v3, v15
	;; [unrolled: 1-line block ×3, first 2 shown]
	v_add_f32_e32 v30, v16, v11
	v_add_f32_e32 v35, v17, v0
	v_sub_f32_e32 v37, v17, v0
	v_sub_f32_e32 v38, v0, v8
	v_add_f32_e32 v15, v15, v23
	v_add_f32_e32 v0, v4, v14
	v_sub_f32_e32 v36, v16, v11
	v_sub_f32_e32 v16, v1, v16
	;; [unrolled: 1-line block ×3, first 2 shown]
	v_add_f32_e32 v22, v30, v1
	v_add_f32_e32 v1, v5, v15
	v_mul_f32_e32 v30, 0x3f08b237, v37
	v_mov_b32_e32 v37, v0
	v_mul_f32_e32 v2, 0x3f4a47b2, v2
	v_mul_f32_e32 v3, 0x3f4a47b2, v3
	;; [unrolled: 1-line block ×3, first 2 shown]
	v_fmac_f32_e32 v37, 0xbf955555, v14
	v_mov_b32_e32 v14, v1
	v_sub_f32_e32 v17, v8, v17
	v_add_f32_e32 v8, v35, v8
	v_mul_f32_e32 v5, 0x3d64c772, v10
	v_mul_f32_e32 v23, 0x3f08b237, v36
	;; [unrolled: 1-line block ×4, first 2 shown]
	v_fmac_f32_e32 v14, 0xbf955555, v15
	v_fma_f32 v4, v24, s7, -v4
	v_fma_f32 v15, v24, s6, -v2
	v_fmac_f32_e32 v2, 0x3d64c772, v9
	v_fma_f32 v9, v25, s6, -v3
	v_fmac_f32_e32 v3, 0x3d64c772, v10
	v_fma_f32 v10, v38, s8, -v30
	v_fma_f32 v5, v25, s7, -v5
	;; [unrolled: 1-line block ×3, first 2 shown]
	v_fmac_f32_e32 v23, 0xbeae86e6, v16
	v_fmac_f32_e32 v30, 0xbeae86e6, v17
	;; [unrolled: 1-line block ×4, first 2 shown]
	v_add_f32_e32 v24, v4, v37
	v_fmac_f32_e32 v10, 0xbee1c552, v8
	v_add_f32_e32 v16, v2, v37
	v_add_f32_e32 v17, v3, v14
	;; [unrolled: 1-line block ×3, first 2 shown]
	v_fmac_f32_e32 v23, 0xbee1c552, v22
	v_fmac_f32_e32 v30, 0xbee1c552, v8
	;; [unrolled: 1-line block ×5, first 2 shown]
	v_sub_f32_e32 v8, v24, v10
	v_add_f32_e32 v10, v10, v24
	v_add_f32_e32 v22, v18, v33
	;; [unrolled: 1-line block ×6, first 2 shown]
	v_sub_f32_e32 v3, v17, v23
	v_add_f32_e32 v9, v11, v25
	v_sub_f32_e32 v11, v25, v11
	v_sub_f32_e32 v16, v16, v30
	v_add_f32_e32 v17, v23, v17
	v_add_f32_e32 v23, v19, v34
	;; [unrolled: 1-line block ×4, first 2 shown]
	v_sub_f32_e32 v26, v28, v26
	v_add_f32_e32 v28, v24, v22
	v_sub_f32_e32 v20, v20, v31
	v_add_f32_e32 v31, v27, v29
	;; [unrolled: 2-line block ×3, first 2 shown]
	v_add_f32_e32 v28, v30, v28
	v_sub_f32_e32 v18, v18, v33
	v_sub_f32_e32 v19, v19, v34
	;; [unrolled: 1-line block ×3, first 2 shown]
	v_add_f32_e32 v29, v31, v29
	v_add_f32_e32 v6, v6, v28
	;; [unrolled: 1-line block ×3, first 2 shown]
	v_sub_f32_e32 v5, v37, v35
	v_sub_f32_e32 v14, v15, v36
	v_add_f32_e32 v15, v35, v37
	v_sub_f32_e32 v32, v24, v22
	v_sub_f32_e32 v33, v25, v23
	;; [unrolled: 1-line block ×6, first 2 shown]
	v_add_f32_e32 v34, v26, v20
	v_add_f32_e32 v35, v27, v21
	v_sub_f32_e32 v36, v26, v20
	v_sub_f32_e32 v37, v27, v21
	;; [unrolled: 1-line block ×4, first 2 shown]
	v_add_f32_e32 v7, v7, v29
	v_mov_b32_e32 v38, v6
	v_sub_f32_e32 v26, v18, v26
	v_sub_f32_e32 v27, v19, v27
	v_add_f32_e32 v18, v34, v18
	v_add_f32_e32 v19, v35, v19
	v_mul_f32_e32 v22, 0x3f4a47b2, v22
	v_mul_f32_e32 v23, 0x3f4a47b2, v23
	;; [unrolled: 1-line block ×8, first 2 shown]
	v_fmac_f32_e32 v38, 0xbf955555, v28
	v_mov_b32_e32 v28, v7
	v_fmac_f32_e32 v28, 0xbf955555, v29
	v_fma_f32 v29, v32, s7, -v30
	v_fma_f32 v30, v33, s7, -v31
	;; [unrolled: 1-line block ×3, first 2 shown]
	v_fmac_f32_e32 v22, 0x3d64c772, v24
	v_fma_f32 v24, v33, s6, -v23
	v_fmac_f32_e32 v23, 0x3d64c772, v25
	v_fma_f32 v25, v20, s8, -v34
	;; [unrolled: 2-line block ×3, first 2 shown]
	v_fmac_f32_e32 v35, 0xbeae86e6, v27
	v_fmac_f32_e32 v36, 0x3eae86e6, v26
	;; [unrolled: 1-line block ×3, first 2 shown]
	v_add_f32_e32 v33, v22, v38
	v_add_f32_e32 v39, v23, v28
	;; [unrolled: 1-line block ×6, first 2 shown]
	v_fmac_f32_e32 v34, 0xbee1c552, v18
	v_fmac_f32_e32 v35, 0xbee1c552, v19
	v_fmac_f32_e32 v25, 0xbee1c552, v18
	v_fmac_f32_e32 v32, 0xbee1c552, v19
	v_fmac_f32_e32 v36, 0xbee1c552, v18
	v_fmac_f32_e32 v37, 0xbee1c552, v19
	v_add_f32_e32 v18, v35, v33
	v_sub_f32_e32 v19, v39, v34
	v_add_f32_e32 v20, v37, v29
	v_sub_f32_e32 v21, v28, v36
	v_sub_f32_e32 v22, v26, v32
	v_add_f32_e32 v23, v25, v27
	v_add_f32_e32 v24, v32, v26
	v_sub_f32_e32 v25, v27, v25
	v_sub_f32_e32 v26, v29, v37
	v_add_f32_e32 v27, v36, v28
	v_sub_f32_e32 v28, v33, v35
	v_add_f32_e32 v29, v34, v39
	ds_write_b64 v85, v[2:3] offset:896
	ds_write_b64 v85, v[4:5] offset:1792
	;; [unrolled: 1-line block ×6, first 2 shown]
	ds_write2_b64 v85, v[0:1], v[6:7] offset1:56
	ds_write_b64 v85, v[18:19] offset:1344
	ds_write_b64 v85, v[20:21] offset:2240
	;; [unrolled: 1-line block ×6, first 2 shown]
	s_waitcnt lgkmcnt(0)
	; wave barrier
	s_waitcnt lgkmcnt(0)
	ds_read2_b64 v[0:3], v85 offset1:56
	v_mov_b32_e32 v4, v13
	v_mad_u64_u32 v[4:5], s[2:3], s3, v64, v[4:5]
	s_mov_b32 s2, 0xa72f0539
	s_waitcnt lgkmcnt(0)
	v_mul_f32_e32 v5, v74, v1
	v_fmac_f32_e32 v5, v73, v0
	v_cvt_f64_f32_e32 v[5:6], v5
	s_mov_b32 s3, 0x3f54e5e0
	v_mul_f32_e32 v0, v74, v0
	v_fma_f32 v0, v73, v1, -v0
	v_mul_f64 v[5:6], v[5:6], s[2:3]
	v_cvt_f64_f32_e32 v[0:1], v0
	v_mad_u64_u32 v[8:9], s[6:7], s0, v88, 0
	v_mov_b32_e32 v13, v4
	v_mul_f64 v[0:1], v[0:1], s[2:3]
	v_mov_b32_e32 v4, v9
	v_mov_b32_e32 v14, s5
	v_mad_u64_u32 v[9:10], s[6:7], s1, v88, v[4:5]
	v_cvt_f32_f64_e32 v10, v[5:6]
	ds_read2_b64 v[4:7], v91 offset0:80 offset1:136
	v_lshlrev_b64 v[8:9], 3, v[8:9]
	v_cvt_f32_f64_e32 v11, v[0:1]
	v_lshlrev_b64 v[0:1], 3, v[12:13]
	s_mul_hi_u32 s5, s0, 0xc40
	s_waitcnt lgkmcnt(0)
	v_mul_f32_e32 v12, v70, v7
	v_fmac_f32_e32 v12, v69, v6
	v_mul_f32_e32 v6, v70, v6
	v_fma_f32 v6, v69, v7, -v6
	v_cvt_f64_f32_e32 v[12:13], v12
	v_cvt_f64_f32_e32 v[6:7], v6
	v_add_co_u32_e32 v18, vcc, s4, v0
	v_addc_co_u32_e32 v19, vcc, v14, v1, vcc
	v_mul_f64 v[0:1], v[12:13], s[2:3]
	v_mul_f64 v[6:7], v[6:7], s[2:3]
	v_add_co_u32_e32 v8, vcc, v18, v8
	v_addc_co_u32_e32 v9, vcc, v19, v9, vcc
	s_mul_i32 s4, s1, 0xc40
	global_store_dwordx2 v[8:9], v[10:11], off
	v_cvt_f32_f64_e32 v0, v[0:1]
	v_cvt_f32_f64_e32 v1, v[6:7]
	v_mul_f32_e32 v6, v76, v3
	v_fmac_f32_e32 v6, v75, v2
	v_mul_f32_e32 v2, v76, v2
	v_fma_f32 v2, v75, v3, -v2
	v_cvt_f64_f32_e32 v[6:7], v6
	v_cvt_f64_f32_e32 v[2:3], v2
	s_add_i32 s4, s5, s4
	s_mul_i32 s5, s0, 0xc40
	v_mul_f64 v[6:7], v[6:7], s[2:3]
	v_mul_f64 v[10:11], v[2:3], s[2:3]
	v_mov_b32_e32 v12, s4
	v_add_co_u32_e32 v8, vcc, s5, v8
	v_addc_co_u32_e32 v9, vcc, v9, v12, vcc
	global_store_dwordx2 v[8:9], v[0:1], off
	ds_read2_b64 v[0:3], v91 offset0:192 offset1:248
	v_cvt_f32_f64_e32 v6, v[6:7]
	v_cvt_f32_f64_e32 v7, v[10:11]
	s_mul_hi_u32 s7, s0, 0xfffff580
	s_mul_i32 s6, s1, 0xfffff580
	s_waitcnt lgkmcnt(0)
	v_mul_f32_e32 v10, v72, v1
	v_fmac_f32_e32 v10, v71, v0
	v_cvt_f64_f32_e32 v[10:11], v10
	s_sub_i32 s7, s7, s0
	s_add_i32 s6, s7, s6
	s_mul_i32 s7, s0, 0xfffff580
	v_mul_f64 v[10:11], v[10:11], s[2:3]
	v_mov_b32_e32 v13, s6
	v_add_co_u32_e32 v12, vcc, s7, v8
	v_mul_f32_e32 v0, v72, v0
	v_addc_co_u32_e32 v13, vcc, v9, v13, vcc
	v_fma_f32 v0, v71, v1, -v0
	global_store_dwordx2 v[12:13], v[6:7], off
	v_cvt_f64_f32_e32 v[0:1], v0
	v_mad_u64_u32 v[14:15], s[8:9], s0, v87, 0
	ds_read2_b64 v[6:9], v85 offset0:112 offset1:168
	v_cvt_f32_f64_e32 v10, v[10:11]
	v_mul_f64 v[0:1], v[0:1], s[2:3]
	v_mov_b32_e32 v11, v15
	v_mad_u64_u32 v[15:16], s[8:9], s1, v87, v[11:12]
	s_waitcnt lgkmcnt(0)
	v_mul_f32_e32 v11, v68, v7
	v_fmac_f32_e32 v11, v67, v6
	v_mul_f32_e32 v6, v68, v6
	v_fma_f32 v6, v67, v7, -v6
	v_cvt_f64_f32_e32 v[16:17], v11
	v_cvt_f64_f32_e32 v[6:7], v6
	v_cvt_f32_f64_e32 v11, v[0:1]
	v_lshlrev_b64 v[14:15], 3, v[14:15]
	v_mul_f64 v[0:1], v[16:17], s[2:3]
	v_mul_f64 v[6:7], v[6:7], s[2:3]
	v_add_co_u32_e32 v14, vcc, v18, v14
	v_addc_co_u32_e32 v15, vcc, v19, v15, vcc
	global_store_dwordx2 v[14:15], v[10:11], off
	v_mad_u64_u32 v[10:11], s[8:9], s0, v86, v[12:13]
	v_cvt_f32_f64_e32 v0, v[0:1]
	v_cvt_f32_f64_e32 v1, v[6:7]
	v_mul_f32_e32 v6, v63, v3
	v_fmac_f32_e32 v6, v62, v2
	v_mul_f32_e32 v2, v63, v2
	v_fma_f32 v2, v62, v3, -v2
	v_cvt_f64_f32_e32 v[6:7], v6
	v_cvt_f64_f32_e32 v[2:3], v2
	s_mul_i32 s0, s1, 0x1c0
	v_add_u32_e32 v11, s0, v11
	v_mul_f64 v[6:7], v[6:7], s[2:3]
	v_mul_f64 v[2:3], v[2:3], s[2:3]
	global_store_dwordx2 v[10:11], v[0:1], off
	v_mul_f32_e32 v0, v61, v9
	v_fmac_f32_e32 v0, v60, v8
	v_cvt_f64_f32_e32 v[0:1], v0
	v_mov_b32_e32 v14, s4
	v_add_co_u32_e32 v10, vcc, s5, v10
	v_mul_f64 v[12:13], v[0:1], s[2:3]
	v_mul_f32_e32 v0, v61, v8
	v_fma_f32 v0, v60, v9, -v0
	v_cvt_f32_f64_e32 v6, v[6:7]
	v_cvt_f32_f64_e32 v7, v[2:3]
	v_cvt_f64_f32_e32 v[8:9], v0
	ds_read2_b64 v[0:3], v89 offset0:48 offset1:104
	v_addc_co_u32_e32 v11, vcc, v11, v14, vcc
	global_store_dwordx2 v[10:11], v[6:7], off
	v_mul_f64 v[6:7], v[8:9], s[2:3]
	s_waitcnt lgkmcnt(0)
	v_mul_f32_e32 v8, v66, v1
	v_fmac_f32_e32 v8, v65, v0
	v_mul_f32_e32 v0, v66, v0
	v_fma_f32 v0, v65, v1, -v0
	v_cvt_f64_f32_e32 v[0:1], v0
	v_cvt_f64_f32_e32 v[8:9], v8
	v_cvt_f32_f64_e32 v12, v[12:13]
	v_cvt_f32_f64_e32 v13, v[6:7]
	v_mul_f64 v[0:1], v[0:1], s[2:3]
	v_mov_b32_e32 v6, s6
	v_add_co_u32_e32 v10, vcc, s7, v10
	v_mul_f64 v[14:15], v[8:9], s[2:3]
	v_addc_co_u32_e32 v11, vcc, v11, v6, vcc
	ds_read2_b64 v[6:9], v90 offset0:96 offset1:152
	global_store_dwordx2 v[10:11], v[12:13], off
	v_cvt_f32_f64_e32 v13, v[0:1]
	v_add_co_u32_e32 v10, vcc, s5, v10
	s_waitcnt lgkmcnt(0)
	v_mul_f32_e32 v0, v59, v7
	v_fmac_f32_e32 v0, v58, v6
	v_mul_f32_e32 v6, v59, v6
	v_fma_f32 v6, v58, v7, -v6
	v_cvt_f64_f32_e32 v[0:1], v0
	v_cvt_f64_f32_e32 v[6:7], v6
	v_cvt_f32_f64_e32 v12, v[14:15]
	v_mov_b32_e32 v14, s4
	v_addc_co_u32_e32 v11, vcc, v11, v14, vcc
	v_mul_f64 v[0:1], v[0:1], s[2:3]
	v_mul_f64 v[6:7], v[6:7], s[2:3]
	global_store_dwordx2 v[10:11], v[12:13], off
	v_mul_f32_e32 v12, v57, v3
	v_fmac_f32_e32 v12, v56, v2
	v_mul_f32_e32 v2, v57, v2
	v_fma_f32 v2, v56, v3, -v2
	v_cvt_f64_f32_e32 v[12:13], v12
	v_cvt_f64_f32_e32 v[2:3], v2
	v_cvt_f32_f64_e32 v0, v[0:1]
	v_cvt_f32_f64_e32 v1, v[6:7]
	v_mul_f64 v[6:7], v[12:13], s[2:3]
	v_mul_f64 v[2:3], v[2:3], s[2:3]
	v_mov_b32_e32 v12, s6
	v_add_co_u32_e32 v10, vcc, s7, v10
	v_addc_co_u32_e32 v11, vcc, v11, v12, vcc
	global_store_dwordx2 v[10:11], v[0:1], off
	v_mul_f32_e32 v0, v55, v9
	v_fmac_f32_e32 v0, v54, v8
	v_cvt_f64_f32_e32 v[12:13], v0
	v_mul_f32_e32 v0, v55, v8
	v_fma_f32 v0, v54, v9, -v0
	v_cvt_f32_f64_e32 v6, v[6:7]
	v_cvt_f32_f64_e32 v7, v[2:3]
	v_cvt_f64_f32_e32 v[8:9], v0
	ds_read2_b64 v[0:3], v89 offset0:160 offset1:216
	v_add_co_u32_e32 v10, vcc, s5, v10
	v_addc_co_u32_e32 v11, vcc, v11, v14, vcc
	global_store_dwordx2 v[10:11], v[6:7], off
	v_mul_f64 v[6:7], v[12:13], s[2:3]
	s_waitcnt lgkmcnt(0)
	v_mul_f32_e32 v12, v53, v1
	v_fmac_f32_e32 v12, v52, v0
	v_mul_f32_e32 v0, v53, v0
	v_fma_f32 v0, v52, v1, -v0
	v_mul_f64 v[8:9], v[8:9], s[2:3]
	v_cvt_f64_f32_e32 v[0:1], v0
	v_cvt_f64_f32_e32 v[12:13], v12
	v_cvt_f32_f64_e32 v6, v[6:7]
	v_add_co_u32_e32 v10, vcc, s7, v10
	v_mul_f64 v[0:1], v[0:1], s[2:3]
	v_cvt_f32_f64_e32 v7, v[8:9]
	v_mul_f64 v[8:9], v[12:13], s[2:3]
	v_mov_b32_e32 v12, s6
	v_addc_co_u32_e32 v11, vcc, v11, v12, vcc
	global_store_dwordx2 v[10:11], v[6:7], off
	v_cvt_f32_f64_e32 v7, v[0:1]
	v_mul_f32_e32 v0, v51, v5
	v_fmac_f32_e32 v0, v50, v4
	v_mul_f32_e32 v4, v51, v4
	v_fma_f32 v4, v50, v5, -v4
	v_cvt_f64_f32_e32 v[0:1], v0
	v_cvt_f64_f32_e32 v[4:5], v4
	v_cvt_f32_f64_e32 v6, v[8:9]
	v_mov_b32_e32 v9, s4
	v_add_co_u32_e32 v8, vcc, s5, v10
	v_addc_co_u32_e32 v9, vcc, v11, v9, vcc
	v_mul_f64 v[0:1], v[0:1], s[2:3]
	v_mul_f64 v[4:5], v[4:5], s[2:3]
	global_store_dwordx2 v[8:9], v[6:7], off
	v_mul_f32_e32 v6, v49, v3
	v_fmac_f32_e32 v6, v48, v2
	v_mul_f32_e32 v2, v49, v2
	v_fma_f32 v2, v48, v3, -v2
	v_cvt_f64_f32_e32 v[6:7], v6
	v_cvt_f64_f32_e32 v[2:3], v2
	v_cvt_f32_f64_e32 v0, v[0:1]
	v_cvt_f32_f64_e32 v1, v[4:5]
	v_mul_f64 v[4:5], v[6:7], s[2:3]
	v_mul_f64 v[2:3], v[2:3], s[2:3]
	v_mov_b32_e32 v7, s6
	v_add_co_u32_e32 v6, vcc, s7, v8
	v_addc_co_u32_e32 v7, vcc, v9, v7, vcc
	global_store_dwordx2 v[6:7], v[0:1], off
	v_cvt_f32_f64_e32 v0, v[4:5]
	v_cvt_f32_f64_e32 v1, v[2:3]
	v_mov_b32_e32 v3, s4
	v_add_co_u32_e32 v2, vcc, s5, v6
	v_addc_co_u32_e32 v3, vcc, v7, v3, vcc
	global_store_dwordx2 v[2:3], v[0:1], off
.LBB0_2:
	s_endpgm
	.section	.rodata,"a",@progbits
	.p2align	6, 0x0
	.amdhsa_kernel bluestein_single_fwd_len784_dim1_sp_op_CI_CI
		.amdhsa_group_segment_fixed_size 6272
		.amdhsa_private_segment_fixed_size 0
		.amdhsa_kernarg_size 104
		.amdhsa_user_sgpr_count 6
		.amdhsa_user_sgpr_private_segment_buffer 1
		.amdhsa_user_sgpr_dispatch_ptr 0
		.amdhsa_user_sgpr_queue_ptr 0
		.amdhsa_user_sgpr_kernarg_segment_ptr 1
		.amdhsa_user_sgpr_dispatch_id 0
		.amdhsa_user_sgpr_flat_scratch_init 0
		.amdhsa_user_sgpr_private_segment_size 0
		.amdhsa_uses_dynamic_stack 0
		.amdhsa_system_sgpr_private_segment_wavefront_offset 0
		.amdhsa_system_sgpr_workgroup_id_x 1
		.amdhsa_system_sgpr_workgroup_id_y 0
		.amdhsa_system_sgpr_workgroup_id_z 0
		.amdhsa_system_sgpr_workgroup_info 0
		.amdhsa_system_vgpr_workitem_id 0
		.amdhsa_next_free_vgpr 169
		.amdhsa_next_free_sgpr 20
		.amdhsa_reserve_vcc 1
		.amdhsa_reserve_flat_scratch 0
		.amdhsa_float_round_mode_32 0
		.amdhsa_float_round_mode_16_64 0
		.amdhsa_float_denorm_mode_32 3
		.amdhsa_float_denorm_mode_16_64 3
		.amdhsa_dx10_clamp 1
		.amdhsa_ieee_mode 1
		.amdhsa_fp16_overflow 0
		.amdhsa_exception_fp_ieee_invalid_op 0
		.amdhsa_exception_fp_denorm_src 0
		.amdhsa_exception_fp_ieee_div_zero 0
		.amdhsa_exception_fp_ieee_overflow 0
		.amdhsa_exception_fp_ieee_underflow 0
		.amdhsa_exception_fp_ieee_inexact 0
		.amdhsa_exception_int_div_zero 0
	.end_amdhsa_kernel
	.text
.Lfunc_end0:
	.size	bluestein_single_fwd_len784_dim1_sp_op_CI_CI, .Lfunc_end0-bluestein_single_fwd_len784_dim1_sp_op_CI_CI
                                        ; -- End function
	.section	.AMDGPU.csdata,"",@progbits
; Kernel info:
; codeLenInByte = 12180
; NumSgprs: 24
; NumVgprs: 169
; ScratchSize: 0
; MemoryBound: 0
; FloatMode: 240
; IeeeMode: 1
; LDSByteSize: 6272 bytes/workgroup (compile time only)
; SGPRBlocks: 2
; VGPRBlocks: 42
; NumSGPRsForWavesPerEU: 24
; NumVGPRsForWavesPerEU: 169
; Occupancy: 1
; WaveLimiterHint : 1
; COMPUTE_PGM_RSRC2:SCRATCH_EN: 0
; COMPUTE_PGM_RSRC2:USER_SGPR: 6
; COMPUTE_PGM_RSRC2:TRAP_HANDLER: 0
; COMPUTE_PGM_RSRC2:TGID_X_EN: 1
; COMPUTE_PGM_RSRC2:TGID_Y_EN: 0
; COMPUTE_PGM_RSRC2:TGID_Z_EN: 0
; COMPUTE_PGM_RSRC2:TIDIG_COMP_CNT: 0
	.type	__hip_cuid_5324391a6b9c4f0,@object ; @__hip_cuid_5324391a6b9c4f0
	.section	.bss,"aw",@nobits
	.globl	__hip_cuid_5324391a6b9c4f0
__hip_cuid_5324391a6b9c4f0:
	.byte	0                               ; 0x0
	.size	__hip_cuid_5324391a6b9c4f0, 1

	.ident	"AMD clang version 19.0.0git (https://github.com/RadeonOpenCompute/llvm-project roc-6.4.0 25133 c7fe45cf4b819c5991fe208aaa96edf142730f1d)"
	.section	".note.GNU-stack","",@progbits
	.addrsig
	.addrsig_sym __hip_cuid_5324391a6b9c4f0
	.amdgpu_metadata
---
amdhsa.kernels:
  - .args:
      - .actual_access:  read_only
        .address_space:  global
        .offset:         0
        .size:           8
        .value_kind:     global_buffer
      - .actual_access:  read_only
        .address_space:  global
        .offset:         8
        .size:           8
        .value_kind:     global_buffer
      - .actual_access:  read_only
        .address_space:  global
        .offset:         16
        .size:           8
        .value_kind:     global_buffer
      - .actual_access:  read_only
        .address_space:  global
        .offset:         24
        .size:           8
        .value_kind:     global_buffer
      - .actual_access:  read_only
        .address_space:  global
        .offset:         32
        .size:           8
        .value_kind:     global_buffer
      - .offset:         40
        .size:           8
        .value_kind:     by_value
      - .address_space:  global
        .offset:         48
        .size:           8
        .value_kind:     global_buffer
      - .address_space:  global
        .offset:         56
        .size:           8
        .value_kind:     global_buffer
      - .address_space:  global
        .offset:         64
        .size:           8
        .value_kind:     global_buffer
      - .address_space:  global
        .offset:         72
        .size:           8
        .value_kind:     global_buffer
      - .offset:         80
        .size:           4
        .value_kind:     by_value
      - .address_space:  global
        .offset:         88
        .size:           8
        .value_kind:     global_buffer
      - .address_space:  global
        .offset:         96
        .size:           8
        .value_kind:     global_buffer
    .group_segment_fixed_size: 6272
    .kernarg_segment_align: 8
    .kernarg_segment_size: 104
    .language:       OpenCL C
    .language_version:
      - 2
      - 0
    .max_flat_workgroup_size: 56
    .name:           bluestein_single_fwd_len784_dim1_sp_op_CI_CI
    .private_segment_fixed_size: 0
    .sgpr_count:     24
    .sgpr_spill_count: 0
    .symbol:         bluestein_single_fwd_len784_dim1_sp_op_CI_CI.kd
    .uniform_work_group_size: 1
    .uses_dynamic_stack: false
    .vgpr_count:     169
    .vgpr_spill_count: 0
    .wavefront_size: 64
amdhsa.target:   amdgcn-amd-amdhsa--gfx906
amdhsa.version:
  - 1
  - 2
...

	.end_amdgpu_metadata
